;; amdgpu-corpus repo=ROCm/rocFFT kind=compiled arch=gfx1030 opt=O3
	.text
	.amdgcn_target "amdgcn-amd-amdhsa--gfx1030"
	.amdhsa_code_object_version 6
	.protected	bluestein_single_back_len9216_dim1_half_op_CI_CI ; -- Begin function bluestein_single_back_len9216_dim1_half_op_CI_CI
	.globl	bluestein_single_back_len9216_dim1_half_op_CI_CI
	.p2align	8
	.type	bluestein_single_back_len9216_dim1_half_op_CI_CI,@function
bluestein_single_back_len9216_dim1_half_op_CI_CI: ; @bluestein_single_back_len9216_dim1_half_op_CI_CI
; %bb.0:
	s_load_dwordx4 s[8:11], s[4:5], 0x28
	s_mov_b32 s7, 0
	s_mov_b32 s1, exec_lo
	s_waitcnt lgkmcnt(0)
	v_cmpx_lt_u64_e64 s[6:7], s[8:9]
	s_cbranch_execz .LBB0_39
; %bb.1:
	s_clause 0x1
	s_load_dwordx4 s[0:3], s[4:5], 0x18
	s_load_dwordx2 s[16:17], s[4:5], 0x0
	v_lshlrev_b32_e32 v53, 2, v0
	v_or_b32_e32 v1, 0x1200, v0
	v_or_b32_e32 v41, 0x200, v0
	;; [unrolled: 1-line block ×4, first 2 shown]
	v_mov_b32_e32 v27, s7
	v_lshlrev_b32_e32 v40, 2, v1
	v_lshlrev_b32_e32 v47, 2, v41
	v_mov_b32_e32 v26, s6
	v_or_b32_e32 v3, 0x1600, v0
	v_lshlrev_b32_e32 v46, 2, v2
	v_lshlrev_b32_e32 v1, 2, v9
	;; [unrolled: 1-line block ×3, first 2 shown]
	s_waitcnt lgkmcnt(0)
	s_load_dwordx4 s[12:15], s[0:1], 0x0
	v_add_co_u32 v54, s0, s16, v53
	v_add_co_ci_u32_e64 v55, null, s17, 0, s0
	s_clause 0x4
	global_load_dword v72, v53, s[16:17]
	global_load_dword v70, v40, s[16:17]
	;; [unrolled: 1-line block ×5, first 2 shown]
	v_add_co_u32 v1, vcc_lo, 0x2000, v54
	v_add_co_ci_u32_e32 v2, vcc_lo, 0, v55, vcc_lo
	v_add_co_u32 v3, vcc_lo, 0x6800, v54
	v_add_co_ci_u32_e32 v4, vcc_lo, 0, v55, vcc_lo
	;; [unrolled: 2-line block ×3, first 2 shown]
	v_add_co_u32 v12, vcc_lo, 0x7000, v54
	s_waitcnt lgkmcnt(0)
	v_mad_u64_u32 v[5:6], null, s14, v26, 0
	v_mad_u64_u32 v[10:11], null, s12, v0, 0
	s_clause 0x1
	global_load_dword v71, v[1:2], off offset:1024
	global_load_dword v69, v[3:4], off offset:1024
	v_add_co_ci_u32_e32 v13, vcc_lo, 0, v55, vcc_lo
	v_add_co_u32 v14, vcc_lo, 0x3000, v54
	v_mad_u64_u32 v[16:17], null, s15, v26, v[6:7]
	v_mad_u64_u32 v[1:2], null, s13, v0, v[11:12]
	v_add_co_ci_u32_e32 v15, vcc_lo, 0, v55, vcc_lo
	s_mul_i32 s1, s13, 0x900
	s_mul_hi_u32 s6, s12, 0x900
	v_mov_b32_e32 v6, v16
	s_mul_i32 s0, s12, 0x900
	v_mov_b32_e32 v11, v1
	s_mul_hi_u32 s7, s12, 0xffffe700
	s_add_i32 s1, s6, s1
	v_lshlrev_b64 v[1:2], 2, v[5:6]
	s_mul_i32 s8, s12, 0xffffe700
	v_lshlrev_b64 v[3:4], 2, v[10:11]
	s_sub_i32 s12, s7, s12
	s_lshl_b64 s[6:7], s[0:1], 2
	s_mul_i32 s9, s13, 0xffffe700
	v_add_co_u32 v1, vcc_lo, s10, v1
	v_add_co_ci_u32_e32 v2, vcc_lo, s11, v2, vcc_lo
	s_add_i32 s9, s12, s9
	v_add_co_u32 v1, vcc_lo, v1, v3
	v_add_co_ci_u32_e32 v2, vcc_lo, v2, v4, vcc_lo
	s_lshl_b64 s[0:1], s[8:9], 2
	v_add_co_u32 v3, vcc_lo, v1, s6
	v_add_co_ci_u32_e32 v4, vcc_lo, s7, v2, vcc_lo
	global_load_dword v11, v[1:2], off
	v_add_co_u32 v5, vcc_lo, v3, s6
	global_load_dword v16, v[3:4], off
	v_add_co_ci_u32_e32 v6, vcc_lo, s7, v4, vcc_lo
	s_clause 0x1
	global_load_dword v67, v[7:8], off offset:1024
	global_load_dword v65, v[12:13], off offset:1024
	v_or_b32_e32 v10, 0x1800, v0
	global_load_dword v17, v[5:6], off
	v_add_co_u32 v1, vcc_lo, v5, s6
	v_add_co_ci_u32_e32 v2, vcc_lo, s7, v6, vcc_lo
	v_lshlrev_b32_e32 v50, 2, v10
	v_add_co_u32 v3, vcc_lo, v1, s0
	v_add_co_ci_u32_e32 v4, vcc_lo, s1, v2, vcc_lo
	global_load_dword v18, v[1:2], off
	v_add_co_u32 v5, vcc_lo, v3, s6
	global_load_dword v12, v[3:4], off
	v_add_co_ci_u32_e32 v6, vcc_lo, s7, v4, vcc_lo
	v_add_co_u32 v1, vcc_lo, v5, s6
	s_load_dwordx2 s[10:11], s[4:5], 0x38
	v_add_co_ci_u32_e32 v2, vcc_lo, s7, v6, vcc_lo
	v_add_co_u32 v7, vcc_lo, v1, s6
	global_load_dword v13, v[5:6], off
	v_add_co_ci_u32_e32 v8, vcc_lo, s7, v2, vcc_lo
	v_add_co_u32 v3, vcc_lo, v7, s0
	global_load_dword v19, v[1:2], off
	v_add_co_ci_u32_e32 v4, vcc_lo, s1, v8, vcc_lo
	v_add_co_u32 v5, vcc_lo, v3, s6
	v_mov_b32_e32 v10, 0
	v_add_co_ci_u32_e32 v6, vcc_lo, s7, v4, vcc_lo
	v_add_co_u32 v1, vcc_lo, v5, s6
	v_add_co_ci_u32_e32 v2, vcc_lo, s7, v6, vcc_lo
	global_load_dword v63, v[14:15], off offset:1024
	global_load_dword v7, v[7:8], off
	global_load_dword v14, v[3:4], off
	;; [unrolled: 1-line block ×4, first 2 shown]
	v_add_co_u32 v1, vcc_lo, v1, s6
	v_add_co_ci_u32_e32 v2, vcc_lo, s7, v2, vcc_lo
	v_add_co_u32 v3, vcc_lo, 0x7800, v54
	v_add_co_ci_u32_e32 v4, vcc_lo, 0, v55, vcc_lo
	;; [unrolled: 2-line block ×3, first 2 shown]
	global_load_dword v62, v48, s[16:17]
	global_load_dword v21, v[1:2], off
	global_load_dword v61, v[3:4], off offset:1024
	global_load_dword v22, v[5:6], off
	v_add_co_u32 v1, vcc_lo, v5, s6
	v_or_b32_e32 v8, 0x600, v0
	v_add_co_ci_u32_e32 v2, vcc_lo, s7, v6, vcc_lo
	v_add_co_u32 v3, vcc_lo, 0x3800, v54
	v_add_co_ci_u32_e32 v4, vcc_lo, 0, v55, vcc_lo
	v_lshlrev_b32_e32 v49, 2, v8
	v_add_co_u32 v5, vcc_lo, v1, s6
	v_add_co_ci_u32_e32 v6, vcc_lo, s7, v2, vcc_lo
	global_load_dword v60, v49, s[16:17]
	global_load_dword v23, v[1:2], off
	global_load_dword v59, v[3:4], off offset:1024
	global_load_dword v24, v[5:6], off
	v_add_co_u32 v3, vcc_lo, v5, s6
	v_add_co_ci_u32_e32 v4, vcc_lo, s7, v6, vcc_lo
	v_add_co_u32 v1, vcc_lo, 0x8000, v54
	v_add_co_ci_u32_e32 v2, vcc_lo, 0, v55, vcc_lo
	global_load_dword v5, v[3:4], off
	s_clause 0x1
	global_load_dword v58, v50, s[16:17]
	global_load_dword v57, v[1:2], off offset:1024
	s_load_dwordx4 s[12:15], s[2:3], 0x0
	v_or_b32_e32 v1, 0x800, v0
	v_mov_b32_e32 v2, v10
	v_lshlrev_b32_e32 v56, 2, v1
	v_cmp_gt_u64_e32 vcc_lo, 0x900, v[1:2]
	s_waitcnt vmcnt(24)
	v_lshrrev_b32_e32 v6, 16, v11
	v_mul_f16_sdwa v25, v72, v11 dst_sel:DWORD dst_unused:UNUSED_PAD src0_sel:WORD_1 src1_sel:DWORD
	s_waitcnt vmcnt(23)
	v_lshrrev_b32_e32 v28, 16, v16
	v_mul_f16_sdwa v29, v71, v16 dst_sel:DWORD dst_unused:UNUSED_PAD src0_sel:WORD_1 src1_sel:DWORD
	v_mul_f16_sdwa v27, v72, v6 dst_sel:DWORD dst_unused:UNUSED_PAD src0_sel:WORD_1 src1_sel:DWORD
	v_fma_f16 v6, v72, v6, -v25
	s_waitcnt vmcnt(20)
	v_lshrrev_b32_e32 v25, 16, v17
	v_fmac_f16_e32 v27, v72, v11
	v_mul_f16_sdwa v11, v71, v28 dst_sel:DWORD dst_unused:UNUSED_PAD src0_sel:WORD_1 src1_sel:DWORD
	v_fma_f16 v28, v71, v28, -v29
	v_mul_f16_sdwa v29, v70, v17 dst_sel:DWORD dst_unused:UNUSED_PAD src0_sel:WORD_1 src1_sel:DWORD
	v_pack_b32_f16 v6, v27, v6
	v_fmac_f16_e32 v11, v71, v16
	v_mul_f16_sdwa v16, v70, v25 dst_sel:DWORD dst_unused:UNUSED_PAD src0_sel:WORD_1 src1_sel:DWORD
	v_fma_f16 v25, v70, v25, -v29
	s_waitcnt vmcnt(19)
	v_lshrrev_b32_e32 v27, 16, v18
	v_mul_f16_sdwa v29, v69, v18 dst_sel:DWORD dst_unused:UNUSED_PAD src0_sel:WORD_1 src1_sel:DWORD
	v_pack_b32_f16 v11, v11, v28
	v_fmac_f16_e32 v16, v70, v17
	s_waitcnt vmcnt(18)
	v_lshrrev_b32_e32 v28, 16, v12
	v_mul_f16_sdwa v17, v69, v27 dst_sel:DWORD dst_unused:UNUSED_PAD src0_sel:WORD_1 src1_sel:DWORD
	v_fma_f16 v27, v69, v27, -v29
	v_mul_f16_sdwa v29, v68, v12 dst_sel:DWORD dst_unused:UNUSED_PAD src0_sel:WORD_1 src1_sel:DWORD
	v_pack_b32_f16 v16, v16, v25
	v_fmac_f16_e32 v17, v69, v18
	v_mul_f16_sdwa v18, v68, v28 dst_sel:DWORD dst_unused:UNUSED_PAD src0_sel:WORD_1 src1_sel:DWORD
	v_fma_f16 v28, v68, v28, -v29
	s_waitcnt vmcnt(17)
	v_lshrrev_b32_e32 v25, 16, v13
	v_mul_f16_sdwa v29, v67, v13 dst_sel:DWORD dst_unused:UNUSED_PAD src0_sel:WORD_1 src1_sel:DWORD
	v_pack_b32_f16 v17, v17, v27
	v_fmac_f16_e32 v18, v68, v12
	v_mul_f16_sdwa v12, v67, v25 dst_sel:DWORD dst_unused:UNUSED_PAD src0_sel:WORD_1 src1_sel:DWORD
	s_waitcnt vmcnt(16)
	v_lshrrev_b32_e32 v27, 16, v19
	v_mul_f16_sdwa v30, v66, v19 dst_sel:DWORD dst_unused:UNUSED_PAD src0_sel:WORD_1 src1_sel:DWORD
	v_fma_f16 v25, v67, v25, -v29
	v_pack_b32_f16 v18, v18, v28
	v_fmac_f16_e32 v12, v67, v13
	v_mul_f16_sdwa v13, v66, v27 dst_sel:DWORD dst_unused:UNUSED_PAD src0_sel:WORD_1 src1_sel:DWORD
	v_fma_f16 v27, v66, v27, -v30
	ds_write2st64_b32 v53, v6, v18 offset1:8
	s_waitcnt vmcnt(14)
	v_lshrrev_b32_e32 v28, 16, v7
	v_mul_f16_sdwa v29, v65, v7 dst_sel:DWORD dst_unused:UNUSED_PAD src0_sel:WORD_1 src1_sel:DWORD
	v_pack_b32_f16 v6, v12, v25
	v_fmac_f16_e32 v13, v66, v19
	s_waitcnt vmcnt(13)
	v_lshrrev_b32_e32 v19, 16, v14
	v_mul_f16_sdwa v12, v65, v28 dst_sel:DWORD dst_unused:UNUSED_PAD src0_sel:WORD_1 src1_sel:DWORD
	v_fma_f16 v18, v65, v28, -v29
	v_mul_f16_sdwa v25, v64, v14 dst_sel:DWORD dst_unused:UNUSED_PAD src0_sel:WORD_1 src1_sel:DWORD
	ds_write2st64_b32 v53, v11, v6 offset0:36 offset1:44
	v_pack_b32_f16 v6, v13, v27
	v_fmac_f16_e32 v12, v65, v7
	v_mul_f16_sdwa v7, v64, v19 dst_sel:DWORD dst_unused:UNUSED_PAD src0_sel:WORD_1 src1_sel:DWORD
	s_waitcnt vmcnt(12)
	v_lshrrev_b32_e32 v13, 16, v15
	v_fma_f16 v11, v64, v19, -v25
	v_mul_f16_sdwa v19, v63, v15 dst_sel:DWORD dst_unused:UNUSED_PAD src0_sel:WORD_1 src1_sel:DWORD
	ds_write2st64_b32 v53, v16, v6 offset0:72 offset1:80
	v_pack_b32_f16 v6, v12, v18
	v_fmac_f16_e32 v7, v64, v14
	v_mul_f16_sdwa v12, v63, v13 dst_sel:DWORD dst_unused:UNUSED_PAD src0_sel:WORD_1 src1_sel:DWORD
	s_waitcnt vmcnt(11)
	v_lshrrev_b32_e32 v14, 16, v20
	s_waitcnt vmcnt(10)
	v_mul_f16_sdwa v16, v62, v20 dst_sel:DWORD dst_unused:UNUSED_PAD src0_sel:WORD_1 src1_sel:DWORD
	v_fma_f16 v13, v63, v13, -v19
	ds_write2st64_b32 v53, v17, v6 offset0:108 offset1:116
	v_pack_b32_f16 v6, v7, v11
	v_fmac_f16_e32 v12, v63, v15
	v_mul_f16_sdwa v7, v62, v14 dst_sel:DWORD dst_unused:UNUSED_PAD src0_sel:WORD_1 src1_sel:DWORD
	v_fma_f16 v11, v62, v14, -v16
	s_waitcnt vmcnt(9)
	v_lshrrev_b32_e32 v14, 16, v21
	s_waitcnt vmcnt(8)
	v_mul_f16_sdwa v15, v61, v21 dst_sel:DWORD dst_unused:UNUSED_PAD src0_sel:WORD_1 src1_sel:DWORD
	v_pack_b32_f16 v12, v12, v13
	v_fmac_f16_e32 v7, v62, v20
	s_waitcnt vmcnt(7)
	v_lshrrev_b32_e32 v13, 16, v22
	v_mul_f16_sdwa v16, v61, v14 dst_sel:DWORD dst_unused:UNUSED_PAD src0_sel:WORD_1 src1_sel:DWORD
	v_fma_f16 v14, v61, v14, -v15
	s_waitcnt vmcnt(6)
	v_mul_f16_sdwa v15, v60, v22 dst_sel:DWORD dst_unused:UNUSED_PAD src0_sel:WORD_1 src1_sel:DWORD
	s_waitcnt vmcnt(5)
	v_lshrrev_b32_e32 v17, 16, v23
	v_pack_b32_f16 v7, v7, v11
	v_mul_f16_sdwa v11, v60, v13 dst_sel:DWORD dst_unused:UNUSED_PAD src0_sel:WORD_1 src1_sel:DWORD
	s_waitcnt vmcnt(3)
	v_lshrrev_b32_e32 v18, 16, v24
	v_fma_f16 v13, v60, v13, -v15
	v_mul_f16_sdwa v15, v59, v23 dst_sel:DWORD dst_unused:UNUSED_PAD src0_sel:WORD_1 src1_sel:DWORD
	s_waitcnt vmcnt(2)
	v_lshrrev_b32_e32 v20, 16, v5
	v_mul_f16_sdwa v19, v59, v17 dst_sel:DWORD dst_unused:UNUSED_PAD src0_sel:WORD_1 src1_sel:DWORD
	v_fmac_f16_e32 v16, v61, v21
	s_waitcnt vmcnt(1)
	v_mul_f16_sdwa v21, v58, v18 dst_sel:DWORD dst_unused:UNUSED_PAD src0_sel:WORD_1 src1_sel:DWORD
	v_fma_f16 v15, v59, v17, -v15
	v_mul_f16_sdwa v17, v58, v24 dst_sel:DWORD dst_unused:UNUSED_PAD src0_sel:WORD_1 src1_sel:DWORD
	v_fmac_f16_e32 v11, v60, v22
	s_waitcnt vmcnt(0)
	v_mul_f16_sdwa v22, v57, v5 dst_sel:DWORD dst_unused:UNUSED_PAD src0_sel:WORD_1 src1_sel:DWORD
	v_mul_f16_sdwa v25, v57, v20 dst_sel:DWORD dst_unused:UNUSED_PAD src0_sel:WORD_1 src1_sel:DWORD
	v_fmac_f16_e32 v19, v59, v23
	v_fma_f16 v17, v58, v18, -v17
	v_fmac_f16_e32 v21, v58, v24
	v_fma_f16 v18, v57, v20, -v22
	v_fmac_f16_e32 v25, v57, v5
	v_pack_b32_f16 v11, v11, v13
	v_pack_b32_f16 v13, v19, v15
	;; [unrolled: 1-line block ×5, first 2 shown]
	ds_write2st64_b32 v53, v6, v11 offset0:16 offset1:24
	ds_write2st64_b32 v53, v12, v13 offset0:52 offset1:60
	;; [unrolled: 1-line block ×4, first 2 shown]
	s_and_saveexec_b32 s2, vcc_lo
	s_cbranch_execz .LBB0_3
; %bb.2:
	v_add_co_u32 v2, s0, v3, s0
	v_add_co_ci_u32_e64 v3, s0, s1, v4, s0
	global_load_dword v14, v56, s[16:17]
	global_load_dword v13, v[2:3], off
	v_add_co_u32 v2, s0, v2, s6
	v_add_co_ci_u32_e64 v3, s0, s7, v3, s0
	v_add_co_u32 v4, s0, v2, s6
	v_add_co_ci_u32_e64 v5, s0, s7, v3, s0
	;; [unrolled: 2-line block ×4, first 2 shown]
	global_load_dword v15, v[2:3], off
	global_load_dword v6, v[6:7], off offset:1024
	global_load_dword v4, v[4:5], off
	v_add_co_u32 v2, s0, 0x8800, v54
	v_lshl_or_b32 v5, v0, 2, 0x6800
	global_load_dword v7, v[11:12], off
	v_add_co_ci_u32_e64 v3, s0, 0, v55, s0
	s_clause 0x1
	global_load_dword v5, v5, s[16:17]
	global_load_dword v2, v[2:3], off offset:1024
	s_waitcnt vmcnt(6)
	v_lshrrev_b32_e32 v3, 16, v13
	v_mul_f16_sdwa v11, v14, v13 dst_sel:DWORD dst_unused:UNUSED_PAD src0_sel:WORD_1 src1_sel:DWORD
	v_mul_f16_sdwa v12, v14, v3 dst_sel:DWORD dst_unused:UNUSED_PAD src0_sel:WORD_1 src1_sel:DWORD
	v_fma_f16 v3, v14, v3, -v11
	v_fmac_f16_e32 v12, v14, v13
	v_pack_b32_f16 v3, v12, v3
	s_waitcnt vmcnt(5)
	v_lshrrev_b32_e32 v11, 16, v15
	s_waitcnt vmcnt(4)
	v_mul_f16_sdwa v16, v6, v15 dst_sel:DWORD dst_unused:UNUSED_PAD src0_sel:WORD_1 src1_sel:DWORD
	s_waitcnt vmcnt(3)
	v_lshrrev_b32_e32 v13, 16, v4
	v_mul_f16_sdwa v17, v6, v11 dst_sel:DWORD dst_unused:UNUSED_PAD src0_sel:WORD_1 src1_sel:DWORD
	s_waitcnt vmcnt(2)
	v_lshrrev_b32_e32 v14, 16, v7
	v_fma_f16 v11, v6, v11, -v16
	s_waitcnt vmcnt(1)
	v_mul_f16_sdwa v16, v5, v4 dst_sel:DWORD dst_unused:UNUSED_PAD src0_sel:WORD_1 src1_sel:DWORD
	v_mul_f16_sdwa v18, v5, v13 dst_sel:DWORD dst_unused:UNUSED_PAD src0_sel:WORD_1 src1_sel:DWORD
	s_waitcnt vmcnt(0)
	v_mul_f16_sdwa v19, v2, v14 dst_sel:DWORD dst_unused:UNUSED_PAD src0_sel:WORD_1 src1_sel:DWORD
	v_mul_f16_sdwa v20, v2, v7 dst_sel:DWORD dst_unused:UNUSED_PAD src0_sel:WORD_1 src1_sel:DWORD
	v_fmac_f16_e32 v17, v6, v15
	v_fma_f16 v6, v5, v13, -v16
	v_fmac_f16_e32 v18, v5, v4
	v_fmac_f16_e32 v19, v2, v7
	v_fma_f16 v2, v2, v14, -v20
	v_pack_b32_f16 v4, v17, v11
	v_pack_b32_f16 v5, v18, v6
	;; [unrolled: 1-line block ×3, first 2 shown]
	ds_write2st64_b32 v53, v3, v4 offset0:32 offset1:68
	ds_write2st64_b32 v53, v5, v2 offset0:104 offset1:140
.LBB0_3:
	s_or_b32 exec_lo, exec_lo, s2
	s_waitcnt lgkmcnt(0)
	s_barrier
	buffer_gl0_inv
	ds_read2st64_b32 v[16:17], v53 offset1:8
	ds_read2st64_b32 v[18:19], v53 offset0:36 offset1:44
	ds_read2st64_b32 v[22:23], v53 offset0:72 offset1:80
	ds_read2st64_b32 v[20:21], v53 offset0:108 offset1:116
	ds_read2st64_b32 v[2:3], v53 offset0:16 offset1:24
	ds_read2st64_b32 v[14:15], v53 offset0:52 offset1:60
	ds_read2st64_b32 v[11:12], v53 offset0:88 offset1:96
	ds_read2st64_b32 v[6:7], v53 offset0:124 offset1:132
                                        ; implicit-def: $vgpr4
                                        ; implicit-def: $vgpr13
                                        ; implicit-def: $vgpr24
	s_and_saveexec_b32 s0, vcc_lo
	s_cbranch_execz .LBB0_5
; %bb.4:
	ds_read2st64_b32 v[4:5], v53 offset0:32 offset1:68
	ds_read_b32 v13, v53 offset:26624
	ds_read_b32 v24, v53 offset:35840
.LBB0_5:
	s_or_b32 exec_lo, exec_lo, s0
	s_waitcnt lgkmcnt(1)
	v_pk_add_f16 v13, v4, v13 neg_lo:[0,1] neg_hi:[0,1]
	s_waitcnt lgkmcnt(0)
	v_pk_add_f16 v24, v5, v24 neg_lo:[0,1] neg_hi:[0,1]
	v_pk_add_f16 v22, v16, v22 neg_lo:[0,1] neg_hi:[0,1]
	;; [unrolled: 1-line block ×4, first 2 shown]
	v_pk_fma_f16 v4, v4, 2.0, v13 op_sel_hi:[1,0,1] neg_lo:[0,0,1] neg_hi:[0,0,1]
	v_pk_fma_f16 v5, v5, 2.0, v24 op_sel_hi:[1,0,1] neg_lo:[0,0,1] neg_hi:[0,0,1]
	v_lshrrev_b32_e32 v11, 16, v22
	v_pk_add_f16 v38, v15, v7 neg_lo:[0,1] neg_hi:[0,1]
	v_pk_add_f16 v12, v3, v12 neg_lo:[0,1] neg_hi:[0,1]
	;; [unrolled: 1-line block ×4, first 2 shown]
	v_add_f16_e32 v29, v11, v20
	v_pk_fma_f16 v18, v18, 2.0, v20 op_sel_hi:[1,0,1] neg_lo:[0,0,1] neg_hi:[0,0,1]
	v_pk_add_f16 v21, v19, v21 neg_lo:[0,1] neg_hi:[0,1]
	v_lshrrev_b32_e32 v27, 16, v23
	v_pk_fma_f16 v5, v4, 2.0, v7 op_sel_hi:[1,0,1] neg_lo:[0,0,1] neg_hi:[0,0,1]
	v_pk_fma_f16 v4, v16, 2.0, v22 op_sel_hi:[1,0,1] neg_lo:[0,0,1] neg_hi:[0,0,1]
	v_fma_f16 v35, v11, 2.0, -v29
	v_lshrrev_b32_e32 v11, 16, v12
	v_pk_add_f16 v6, v14, v6 neg_lo:[0,1] neg_hi:[0,1]
	v_sub_f16_sdwa v28, v22, v20 dst_sel:DWORD dst_unused:UNUSED_PAD src0_sel:DWORD src1_sel:WORD_1
	v_lshrrev_b32_e32 v32, 16, v25
	v_pk_add_f16 v20, v4, v18 neg_lo:[0,1] neg_hi:[0,1]
	v_add_f16_e32 v44, v11, v38
	v_lshrrev_b32_e32 v45, 16, v13
	v_sub_f16_sdwa v30, v23, v21 dst_sel:DWORD dst_unused:UNUSED_PAD src0_sel:DWORD src1_sel:WORD_1
	v_add_f16_e32 v31, v27, v21
	v_pk_fma_f16 v17, v17, 2.0, v23 op_sel_hi:[1,0,1] neg_lo:[0,0,1] neg_hi:[0,0,1]
	v_pk_fma_f16 v19, v19, 2.0, v21 op_sel_hi:[1,0,1] neg_lo:[0,0,1] neg_hi:[0,0,1]
	v_sub_f16_sdwa v36, v25, v6 dst_sel:DWORD dst_unused:UNUSED_PAD src0_sel:DWORD src1_sel:WORD_1
	v_add_f16_e32 v37, v32, v6
	v_pk_fma_f16 v18, v4, 2.0, v20 op_sel_hi:[1,0,1] neg_lo:[0,0,1] neg_hi:[0,0,1]
	v_pk_fma_f16 v2, v2, 2.0, v25 op_sel_hi:[1,0,1] neg_lo:[0,0,1] neg_hi:[0,0,1]
	;; [unrolled: 1-line block ×3, first 2 shown]
	v_fma_f16 v33, v22, 2.0, -v28
	v_sub_f16_sdwa v43, v12, v38 dst_sel:DWORD dst_unused:UNUSED_PAD src0_sel:DWORD src1_sel:WORD_1
	v_pk_fma_f16 v3, v3, 2.0, v12 op_sel_hi:[1,0,1] neg_lo:[0,0,1] neg_hi:[0,0,1]
	v_pk_fma_f16 v6, v15, 2.0, v38 op_sel_hi:[1,0,1] neg_lo:[0,0,1] neg_hi:[0,0,1]
	v_fma_f16 v52, v11, 2.0, -v44
	v_sub_f16_sdwa v11, v13, v24 dst_sel:DWORD dst_unused:UNUSED_PAD src0_sel:DWORD src1_sel:WORD_1
	v_add_f16_e32 v42, v24, v45
	v_fma_f16 v34, v23, 2.0, -v30
	v_fma_f16 v27, v27, 2.0, -v31
	v_pk_add_f16 v24, v17, v19 neg_lo:[0,1] neg_hi:[0,1]
	v_fma_f16 v39, v25, 2.0, -v36
	v_fma_f16 v32, v32, 2.0, -v37
	v_pack_b32_f16 v21, v28, v29
	v_pk_add_f16 v29, v2, v4 neg_lo:[0,1] neg_hi:[0,1]
	v_fma_f16 v51, v12, 2.0, -v43
	v_pack_b32_f16 v19, v33, v35
	v_pk_add_f16 v33, v3, v6 neg_lo:[0,1] neg_hi:[0,1]
	v_fma_f16 v13, v13, 2.0, -v11
	v_fma_f16 v16, v45, 2.0, -v42
	v_lshlrev_b32_e32 v77, 4, v0
	v_lshlrev_b32_e32 v79, 4, v41
	;; [unrolled: 1-line block ×5, first 2 shown]
	v_pk_fma_f16 v22, v17, 2.0, v24 op_sel_hi:[1,0,1] neg_lo:[0,0,1] neg_hi:[0,0,1]
	v_pack_b32_f16 v25, v30, v31
	v_pack_b32_f16 v23, v34, v27
	v_pk_fma_f16 v27, v2, 2.0, v29 op_sel_hi:[1,0,1] neg_lo:[0,0,1] neg_hi:[0,0,1]
	v_pack_b32_f16 v30, v36, v37
	v_pack_b32_f16 v28, v39, v32
	;; [unrolled: 3-line block ×3, first 2 shown]
	s_barrier
	buffer_gl0_inv
	ds_write_b128 v77, v[18:21]
	ds_write_b128 v79, v[22:25]
	;; [unrolled: 1-line block ×4, first 2 shown]
	s_and_saveexec_b32 s0, vcc_lo
	s_cbranch_execz .LBB0_7
; %bb.6:
	v_perm_b32 v8, v42, v11, 0x5040100
	v_perm_b32 v6, v16, v13, 0x5040100
	ds_write_b128 v81, v[5:8]
.LBB0_7:
	s_or_b32 exec_lo, exec_lo, s0
	s_waitcnt lgkmcnt(0)
	s_barrier
	buffer_gl0_inv
	ds_read2st64_b32 v[14:15], v53 offset1:8
	ds_read2st64_b32 v[20:21], v53 offset0:18 offset1:26
	ds_read2st64_b32 v[22:23], v53 offset0:36 offset1:44
	ds_read2st64_b32 v[27:28], v53 offset0:54 offset1:62
	ds_read2st64_b32 v[31:32], v53 offset0:72 offset1:80
	ds_read2st64_b32 v[33:34], v53 offset0:90 offset1:98
	ds_read2st64_b32 v[35:36], v53 offset0:108 offset1:116
	ds_read2st64_b32 v[37:38], v53 offset0:126 offset1:134
	s_load_dwordx2 s[2:3], s[4:5], 0x8
	v_cmp_gt_u64_e64 s0, 0x480, v[9:10]
                                        ; implicit-def: $vgpr25
                                        ; implicit-def: $vgpr6
                                        ; implicit-def: $vgpr8
                                        ; implicit-def: $vgpr30
                                        ; implicit-def: $vgpr43
                                        ; implicit-def: $vgpr44
	s_and_saveexec_b32 s1, s0
	s_cbranch_execz .LBB0_9
; %bb.8:
	ds_read2st64_b32 v[12:13], v53 offset0:16 offset1:34
	ds_read2st64_b32 v[10:11], v53 offset0:52 offset1:70
	;; [unrolled: 1-line block ×4, first 2 shown]
	s_waitcnt lgkmcnt(0)
	v_lshrrev_b32_e32 v16, 16, v13
	v_lshrrev_b32_e32 v42, 16, v11
	;; [unrolled: 1-line block ×6, first 2 shown]
	v_mov_b32_e32 v7, v10
	v_mov_b32_e32 v5, v12
.LBB0_9:
	s_or_b32 exec_lo, exec_lo, s1
	v_and_b32_e32 v74, 3, v0
	v_lshlrev_b32_e32 v39, 3, v0
	v_lshlrev_b32_e32 v41, 3, v41
	s_waitcnt lgkmcnt(0)
	v_lshrrev_b32_e32 v10, 16, v20
	v_lshrrev_b32_e32 v12, 16, v22
	v_mad_u64_u32 v[17:18], null, v74, 28, s[2:3]
	v_lshrrev_b32_e32 v45, 16, v27
	v_lshrrev_b32_e32 v52, 16, v31
	;; [unrolled: 1-line block ×5, first 2 shown]
	v_and_or_b32 v76, 0xfe0, v39, v74
	s_clause 0x1
	global_load_dwordx4 v[1:4], v[17:18], off
	global_load_dwordx3 v[17:19], v[17:18], off offset:16
	v_and_or_b32 v41, 0x1fe0, v41, v74
	v_lshrrev_b32_e32 v85, 16, v21
	v_lshrrev_b32_e32 v86, 16, v23
	;; [unrolled: 1-line block ×8, first 2 shown]
	v_lshlrev_b32_e32 v78, 2, v76
	v_lshlrev_b32_e32 v76, 2, v41
	;; [unrolled: 1-line block ×4, first 2 shown]
	v_lshrrev_b32_e32 v9, 16, v14
	v_lshrrev_b32_e32 v92, 16, v15
	;; [unrolled: 1-line block ×3, first 2 shown]
	s_waitcnt vmcnt(0)
	s_barrier
	buffer_gl0_inv
	v_mul_f16_sdwa v41, v10, v1 dst_sel:DWORD dst_unused:UNUSED_PAD src0_sel:DWORD src1_sel:WORD_1
	v_mul_f16_sdwa v95, v20, v1 dst_sel:DWORD dst_unused:UNUSED_PAD src0_sel:DWORD src1_sel:WORD_1
	;; [unrolled: 1-line block ×42, first 2 shown]
	v_fma_f16 v20, v20, v1, -v41
	v_fma_f16 v22, v22, v2, -v96
	;; [unrolled: 1-line block ×7, first 2 shown]
	v_fmac_f16_e32 v95, v10, v1
	v_fmac_f16_e32 v97, v12, v2
	;; [unrolled: 1-line block ×7, first 2 shown]
	v_fma_f16 v21, v21, v1, -v106
	v_fma_f16 v23, v23, v2, -v109
	;; [unrolled: 1-line block ×8, first 2 shown]
	v_fmac_f16_e32 v110, v85, v1
	v_fmac_f16_e32 v112, v86, v2
	;; [unrolled: 1-line block ×8, first 2 shown]
	v_fma_f16 v10, v11, v3, -v126
	v_fmac_f16_e32 v127, v42, v3
	v_fma_f16 v11, v29, v4, -v128
	v_fma_f16 v12, v30, v17, -v130
	v_fmac_f16_e32 v133, v8, v18
	v_fmac_f16_e32 v135, v6, v19
	;; [unrolled: 1-line block ×3, first 2 shown]
	v_fma_f16 v7, v7, v2, -v124
	v_fmac_f16_e32 v129, v44, v4
	v_fmac_f16_e32 v131, v43, v17
	v_fma_f16 v16, v24, v18, -v132
	v_fma_f16 v8, v25, v19, -v134
	v_sub_f16_e32 v6, v14, v31
	v_sub_f16_e32 v24, v9, v101
	;; [unrolled: 1-line block ×24, first 2 shown]
	v_fma_f16 v14, v14, 2.0, -v6
	v_fma_f16 v9, v9, 2.0, -v24
	;; [unrolled: 1-line block ×8, first 2 shown]
	v_sub_f16_e32 v86, v6, v29
	v_add_f16_e32 v25, v24, v25
	v_sub_f16_e32 v29, v30, v35
	v_add_f16_e32 v33, v31, v33
	v_fma_f16 v15, v15, 2.0, -v32
	v_fma_f16 v35, v92, 2.0, -v37
	;; [unrolled: 1-line block ×8, first 2 shown]
	v_sub_f16_e32 v41, v32, v41
	v_add_f16_e32 v36, v37, v36
	v_sub_f16_e32 v43, v34, v43
	v_add_f16_e32 v38, v42, v38
	v_fma_f16 v91, v125, 2.0, -v45
	v_fma_f16 v93, v127, 2.0, -v73
	v_sub_f16_e32 v45, v11, v45
	v_sub_f16_e32 v73, v12, v73
	v_fma_f16 v5, v5, 2.0, -v11
	v_fma_f16 v90, v94, 2.0, -v44
	;; [unrolled: 1-line block ×6, first 2 shown]
	v_add_f16_e32 v16, v44, v16
	v_add_f16_e32 v8, v52, v8
	v_sub_f16_e32 v22, v14, v22
	v_sub_f16_e32 v80, v9, v80
	v_fma_f16 v6, v6, 2.0, -v86
	v_fma_f16 v24, v24, 2.0, -v25
	v_sub_f16_e32 v27, v20, v27
	v_sub_f16_e32 v85, v84, v85
	v_fma_f16 v96, v30, 2.0, -v29
	v_fma_f16 v31, v31, 2.0, -v33
	v_fmamk_f16 v97, v29, 0x39a8, v86
	v_fmamk_f16 v98, v33, 0x39a8, v25
	v_sub_f16_e32 v23, v15, v23
	v_sub_f16_e32 v87, v35, v87
	v_fma_f16 v99, v32, 2.0, -v41
	v_fma_f16 v100, v37, 2.0, -v36
	v_sub_f16_e32 v28, v21, v28
	v_sub_f16_e32 v32, v88, v89
	v_fma_f16 v34, v34, 2.0, -v43
	v_fma_f16 v37, v42, 2.0, -v38
	;; [unrolled: 1-line block ×4, first 2 shown]
	v_fmamk_f16 v42, v43, 0x39a8, v41
	v_fmamk_f16 v89, v38, 0x39a8, v36
	v_sub_f16_e32 v7, v5, v7
	v_sub_f16_e32 v91, v90, v91
	v_fma_f16 v44, v44, 2.0, -v16
	v_sub_f16_e32 v10, v13, v10
	v_sub_f16_e32 v94, v92, v93
	v_fma_f16 v52, v52, 2.0, -v8
	v_fmamk_f16 v30, v73, 0x39a8, v45
	v_fma_f16 v14, v14, 2.0, -v22
	v_fma_f16 v9, v9, 2.0, -v80
	v_fma_f16 v20, v20, 2.0, -v27
	v_fma_f16 v84, v84, 2.0, -v85
	v_fmamk_f16 v101, v96, 0xb9a8, v6
	v_fmamk_f16 v102, v31, 0xb9a8, v24
	;; [unrolled: 1-line block ×3, first 2 shown]
	v_sub_f16_e32 v85, v22, v85
	v_add_f16_e32 v27, v80, v27
	v_fmac_f16_e32 v97, 0xb9a8, v33
	v_fmac_f16_e32 v98, 0x39a8, v29
	v_fma_f16 v15, v15, 2.0, -v23
	v_fma_f16 v33, v35, 2.0, -v87
	;; [unrolled: 1-line block ×4, first 2 shown]
	v_fmamk_f16 v88, v34, 0xb9a8, v99
	v_fmamk_f16 v103, v37, 0xb9a8, v100
	v_sub_f16_e32 v104, v23, v32
	v_fmamk_f16 v32, v12, 0xb9a8, v11
	v_fmac_f16_e32 v42, 0xb9a8, v38
	v_fmac_f16_e32 v89, 0x39a8, v43
	v_fma_f16 v5, v5, 2.0, -v7
	v_fma_f16 v43, v90, 2.0, -v91
	;; [unrolled: 1-line block ×4, first 2 shown]
	v_fmamk_f16 v95, v52, 0xb9a8, v44
	v_add_f16_e32 v28, v87, v28
	v_sub_f16_e32 v29, v7, v94
	v_add_f16_e32 v94, v91, v10
	v_fmac_f16_e32 v30, 0xb9a8, v8
	v_sub_f16_e32 v8, v14, v20
	v_sub_f16_e32 v10, v9, v84
	v_fmac_f16_e32 v101, 0xb9a8, v31
	v_fmac_f16_e32 v102, 0x39a8, v96
	;; [unrolled: 1-line block ×3, first 2 shown]
	v_fma_f16 v20, v22, 2.0, -v85
	v_fma_f16 v73, v80, 2.0, -v27
	;; [unrolled: 1-line block ×4, first 2 shown]
	v_sub_f16_e32 v21, v15, v21
	v_sub_f16_e32 v84, v33, v35
	v_fmac_f16_e32 v88, 0xb9a8, v37
	v_fmac_f16_e32 v103, 0x39a8, v34
	;; [unrolled: 1-line block ×3, first 2 shown]
	v_sub_f16_e32 v31, v5, v13
	v_sub_f16_e32 v96, v43, v38
	v_fmac_f16_e32 v95, 0x39a8, v12
	v_fma_f16 v23, v23, 2.0, -v104
	v_fma_f16 v34, v87, 2.0, -v28
	v_fma_f16 v86, v41, 2.0, -v42
	v_fma_f16 v87, v36, 2.0, -v89
	v_fma_f16 v35, v7, 2.0, -v29
	v_pack_b32_f16 v7, v85, v27
	v_pack_b32_f16 v12, v97, v98
	v_fma_f16 v14, v14, 2.0, -v8
	v_fma_f16 v9, v9, 2.0, -v10
	v_fma_f16 v27, v6, 2.0, -v101
	v_fma_f16 v24, v24, 2.0, -v102
	v_fma_f16 v38, v16, 2.0, -v93
	v_pack_b32_f16 v13, v104, v28
	v_pack_b32_f16 v16, v42, v89
	;; [unrolled: 7-line block ×4, first 2 shown]
	ds_write2_b32 v78, v7, v12 offset0:24 offset1:28
	v_pack_b32_f16 v7, v23, v34
	v_pack_b32_f16 v12, v86, v87
	;; [unrolled: 1-line block ×6, first 2 shown]
	ds_write2_b32 v78, v11, v20 offset0:8 offset1:12
	v_pack_b32_f16 v11, v15, v28
	v_pack_b32_f16 v15, v33, v42
	ds_write2_b32 v78, v8, v10 offset0:16 offset1:20
	ds_write2_b32 v76, v7, v12 offset0:8 offset1:12
	;; [unrolled: 1-line block ×3, first 2 shown]
	ds_write2_b32 v78, v9, v14 offset1:4
	ds_write2_b32 v76, v11, v15 offset1:4
	ds_write2_b32 v76, v13, v16 offset0:24 offset1:28
	s_and_saveexec_b32 s1, s0
	s_cbranch_execz .LBB0_11
; %bb.10:
	v_and_or_b32 v7, 0x2fe0, v75, v74
	v_perm_b32 v8, v22, v5, 0x5040100
	v_perm_b32 v9, v41, v6, 0x5040100
	;; [unrolled: 1-line block ×4, first 2 shown]
	v_lshlrev_b32_e32 v7, 2, v7
	v_perm_b32 v12, v96, v31, 0x5040100
	v_perm_b32 v13, v95, v32, 0x5040100
	;; [unrolled: 1-line block ×4, first 2 shown]
	ds_write2_b32 v7, v8, v9 offset1:4
	ds_write2_b32 v7, v10, v11 offset0:8 offset1:12
	ds_write2_b32 v7, v12, v13 offset0:16 offset1:20
	;; [unrolled: 1-line block ×3, first 2 shown]
.LBB0_11:
	s_or_b32 exec_lo, exec_lo, s1
	s_waitcnt lgkmcnt(0)
	s_barrier
	buffer_gl0_inv
	ds_read2st64_b32 v[9:10], v53 offset1:8
	ds_read2st64_b32 v[15:16], v53 offset0:36 offset1:44
	ds_read2st64_b32 v[27:28], v53 offset0:72 offset1:80
	ds_read2st64_b32 v[33:34], v53 offset0:108 offset1:116
	ds_read2st64_b32 v[7:8], v53 offset0:16 offset1:24
	ds_read2st64_b32 v[11:12], v53 offset0:52 offset1:60
	ds_read2st64_b32 v[13:14], v53 offset0:88 offset1:96
	ds_read2st64_b32 v[20:21], v53 offset0:124 offset1:132
	s_and_saveexec_b32 s1, vcc_lo
	s_cbranch_execz .LBB0_13
; %bb.12:
	ds_read2st64_b32 v[5:6], v53 offset0:32 offset1:68
	ds_read_b32 v35, v53 offset:26624
	ds_read_b32 v36, v53 offset:35840
	s_waitcnt lgkmcnt(2)
	v_lshrrev_b32_e32 v22, 16, v5
	v_lshrrev_b32_e32 v41, 16, v6
	s_waitcnt lgkmcnt(1)
	v_lshrrev_b32_e32 v37, 16, v35
	s_waitcnt lgkmcnt(0)
	v_lshrrev_b32_e32 v38, 16, v36
.LBB0_13:
	s_or_b32 exec_lo, exec_lo, s1
	v_and_b32_e32 v80, 31, v0
	s_waitcnt lgkmcnt(6)
	v_lshrrev_b32_e32 v43, 16, v15
	s_waitcnt lgkmcnt(5)
	v_lshrrev_b32_e32 v44, 16, v27
	;; [unrolled: 2-line block ×3, first 2 shown]
	v_lshrrev_b32_e32 v73, 16, v16
	v_mad_u64_u32 v[23:24], null, v80, 12, s[2:3]
	v_and_or_b32 v85, 0x780, v53, v80
	v_and_or_b32 v86, 0xf80, v47, v80
	;; [unrolled: 1-line block ×4, first 2 shown]
	v_lshrrev_b32_e32 v84, 16, v28
	v_lshrrev_b32_e32 v89, 16, v34
	global_load_dwordx3 v[23:25], v[23:24], off offset:112
	s_waitcnt lgkmcnt(2)
	v_lshrrev_b32_e32 v91, 16, v11
	s_waitcnt lgkmcnt(1)
	v_lshrrev_b32_e32 v92, 16, v13
	;; [unrolled: 2-line block ×3, first 2 shown]
	v_lshrrev_b32_e32 v99, 16, v12
	v_lshrrev_b32_e32 v100, 16, v14
	;; [unrolled: 1-line block ×3, first 2 shown]
	v_lshlrev_b32_e32 v88, 2, v85
	v_lshlrev_b32_e32 v87, 2, v86
	;; [unrolled: 1-line block ×4, first 2 shown]
	v_lshrrev_b32_e32 v42, 16, v9
	v_lshrrev_b32_e32 v52, 16, v10
	;; [unrolled: 1-line block ×4, first 2 shown]
	s_waitcnt vmcnt(0)
	s_barrier
	buffer_gl0_inv
	v_mul_f16_sdwa v101, v43, v23 dst_sel:DWORD dst_unused:UNUSED_PAD src0_sel:DWORD src1_sel:WORD_1
	v_mul_f16_sdwa v102, v15, v23 dst_sel:DWORD dst_unused:UNUSED_PAD src0_sel:DWORD src1_sel:WORD_1
	;; [unrolled: 1-line block ×30, first 2 shown]
	v_fma_f16 v15, v15, v23, -v101
	v_fmac_f16_e32 v102, v43, v23
	v_fma_f16 v27, v27, v24, -v104
	v_fmac_f16_e32 v105, v44, v24
	;; [unrolled: 2-line block ×15, first 2 shown]
	v_sub_f16_e32 v27, v9, v27
	v_sub_f16_e32 v37, v42, v105
	;; [unrolled: 1-line block ×20, first 2 shown]
	v_fma_f16 v9, v9, 2.0, -v27
	v_fma_f16 v92, v42, 2.0, -v37
	;; [unrolled: 1-line block ×16, first 2 shown]
	v_add_f16_e32 v34, v43, v34
	v_fma_f16 v5, v5, 2.0, -v35
	v_fma_f16 v22, v22, 2.0, -v89
	;; [unrolled: 1-line block ×4, first 2 shown]
	v_sub_f16_e32 v97, v27, v38
	v_add_f16_e32 v33, v37, v33
	v_sub_f16_e32 v100, v28, v41
	v_sub_f16_e32 v38, v35, v91
	v_add_f16_e32 v41, v89, v36
	v_sub_f16_e32 v15, v9, v15
	v_sub_f16_e32 v36, v92, v42
	;; [unrolled: 1-line block ×3, first 2 shown]
	v_add_f16_e32 v20, v44, v20
	v_sub_f16_e32 v16, v10, v16
	v_sub_f16_e32 v99, v52, v99
	;; [unrolled: 1-line block ×5, first 2 shown]
	v_add_f16_e32 v21, v73, v21
	v_sub_f16_e32 v12, v8, v12
	v_sub_f16_e32 v102, v98, v102
	v_fma_f16 v104, v43, 2.0, -v34
	v_sub_f16_e32 v42, v5, v6
	v_sub_f16_e32 v43, v22, v103
	v_fma_f16 v27, v27, 2.0, -v97
	v_fma_f16 v91, v37, 2.0, -v33
	v_fma_f16 v6, v35, 2.0, -v38
	v_fma_f16 v9, v9, 2.0, -v15
	v_fma_f16 v35, v92, 2.0, -v36
	v_fma_f16 v28, v28, 2.0, -v100
	v_fma_f16 v13, v13, 2.0, -v45
	v_fma_f16 v105, v44, 2.0, -v20
	v_pack_b32_f16 v20, v45, v20
	v_fma_f16 v10, v10, 2.0, -v16
	v_fma_f16 v45, v52, 2.0, -v99
	;; [unrolled: 1-line block ×6, first 2 shown]
	v_pack_b32_f16 v21, v84, v21
	v_fma_f16 v8, v8, 2.0, -v12
	v_fma_f16 v84, v98, 2.0, -v102
	;; [unrolled: 1-line block ×3, first 2 shown]
	v_pack_b32_f16 v33, v97, v33
	v_pack_b32_f16 v34, v100, v34
	v_fma_f16 v5, v5, 2.0, -v42
	v_fma_f16 v37, v22, 2.0, -v43
	v_pack_b32_f16 v15, v15, v36
	v_pack_b32_f16 v16, v16, v99
	;; [unrolled: 1-line block ×12, first 2 shown]
	ds_write2_b32 v88, v15, v33 offset0:64 offset1:96
	ds_write2_b32 v87, v16, v34 offset0:64 offset1:96
	;; [unrolled: 1-line block ×3, first 2 shown]
	ds_write2_b32 v88, v9, v22 offset1:32
	ds_write2_b32 v87, v10, v27 offset1:32
	;; [unrolled: 1-line block ×4, first 2 shown]
	ds_write2_b32 v85, v12, v21 offset0:64 offset1:96
	s_and_saveexec_b32 s1, vcc_lo
	s_cbranch_execz .LBB0_15
; %bb.14:
	v_and_or_b32 v7, 0x2780, v56, v80
	v_perm_b32 v8, v37, v5, 0x5040100
	v_perm_b32 v9, v44, v6, 0x5040100
	;; [unrolled: 1-line block ×4, first 2 shown]
	v_lshlrev_b32_e32 v7, 2, v7
	ds_write2_b32 v7, v8, v9 offset1:32
	ds_write2_b32 v7, v10, v11 offset0:64 offset1:96
.LBB0_15:
	s_or_b32 exec_lo, exec_lo, s1
	s_waitcnt lgkmcnt(0)
	s_barrier
	buffer_gl0_inv
	ds_read2st64_b32 v[9:10], v53 offset1:8
	ds_read2st64_b32 v[15:16], v53 offset0:36 offset1:44
	ds_read2st64_b32 v[33:34], v53 offset0:72 offset1:80
	;; [unrolled: 1-line block ×7, first 2 shown]
	s_and_saveexec_b32 s1, vcc_lo
	s_cbranch_execz .LBB0_17
; %bb.16:
	ds_read2st64_b32 v[5:6], v53 offset0:32 offset1:68
	ds_read_b32 v42, v53 offset:26624
	ds_read_b32 v38, v53 offset:35840
	s_waitcnt lgkmcnt(2)
	v_lshrrev_b32_e32 v37, 16, v5
	v_lshrrev_b32_e32 v44, 16, v6
	s_waitcnt lgkmcnt(1)
	v_lshrrev_b32_e32 v43, 16, v42
	s_waitcnt lgkmcnt(0)
	v_lshrrev_b32_e32 v41, 16, v38
.LBB0_17:
	s_or_b32 exec_lo, exec_lo, s1
	v_and_b32_e32 v84, 0x7f, v0
	s_waitcnt lgkmcnt(6)
	v_lshrrev_b32_e32 v52, 16, v15
	s_waitcnt lgkmcnt(5)
	v_lshrrev_b32_e32 v73, 16, v33
	;; [unrolled: 2-line block ×3, first 2 shown]
	v_lshrrev_b32_e32 v99, 16, v16
	v_mad_u64_u32 v[20:21], null, v84, 12, s[2:3]
	v_and_or_b32 v89, 0x600, v53, v84
	v_and_or_b32 v90, 0xe00, v47, v84
	;; [unrolled: 1-line block ×4, first 2 shown]
	v_lshrrev_b32_e32 v100, 16, v34
	v_lshrrev_b32_e32 v101, 16, v36
	global_load_dwordx3 v[20:22], v[20:21], off offset:496
	s_waitcnt lgkmcnt(2)
	v_lshrrev_b32_e32 v103, 16, v11
	s_waitcnt lgkmcnt(1)
	v_lshrrev_b32_e32 v104, 16, v13
	;; [unrolled: 2-line block ×3, first 2 shown]
	v_lshrrev_b32_e32 v107, 16, v12
	v_lshrrev_b32_e32 v108, 16, v14
	;; [unrolled: 1-line block ×3, first 2 shown]
	v_lshlrev_b32_e32 v92, 2, v89
	v_lshlrev_b32_e32 v91, 2, v90
	;; [unrolled: 1-line block ×4, first 2 shown]
	v_lshrrev_b32_e32 v45, 16, v9
	v_lshrrev_b32_e32 v98, 16, v10
	;; [unrolled: 1-line block ×4, first 2 shown]
	s_waitcnt vmcnt(0)
	s_barrier
	buffer_gl0_inv
	v_mul_f16_sdwa v109, v52, v20 dst_sel:DWORD dst_unused:UNUSED_PAD src0_sel:DWORD src1_sel:WORD_1
	v_mul_f16_sdwa v110, v15, v20 dst_sel:DWORD dst_unused:UNUSED_PAD src0_sel:DWORD src1_sel:WORD_1
	;; [unrolled: 1-line block ×29, first 2 shown]
	v_fma_f16 v15, v15, v20, -v109
	v_fmac_f16_e32 v110, v52, v20
	v_fma_f16 v33, v33, v21, -v112
	v_fmac_f16_e32 v113, v73, v21
	;; [unrolled: 2-line block ×3, first 2 shown]
	v_mul_f16_sdwa v135, v6, v20 dst_sel:DWORD dst_unused:UNUSED_PAD src0_sel:DWORD src1_sel:WORD_1
	v_fma_f16 v16, v16, v20, -v116
	v_fmac_f16_e32 v117, v99, v20
	v_fma_f16 v34, v34, v21, -v118
	v_fmac_f16_e32 v119, v100, v21
	;; [unrolled: 2-line block ×9, first 2 shown]
	v_fma_f16 v28, v6, v20, -v134
	v_fma_f16 v6, v42, v21, -v136
	v_fmac_f16_e32 v137, v43, v21
	v_fma_f16 v38, v38, v22, -v138
	v_fmac_f16_e32 v139, v41, v22
	v_sub_f16_e32 v33, v9, v33
	v_sub_f16_e32 v41, v45, v113
	v_sub_f16_e32 v35, v15, v35
	v_sub_f16_e32 v42, v110, v115
	v_fmac_f16_e32 v135, v44, v20
	v_sub_f16_e32 v43, v10, v34
	v_sub_f16_e32 v44, v98, v119
	;; [unrolled: 1-line block ×15, first 2 shown]
	v_fma_f16 v9, v9, 2.0, -v33
	v_fma_f16 v45, v45, 2.0, -v41
	;; [unrolled: 1-line block ×4, first 2 shown]
	v_sub_f16_e32 v103, v135, v139
	v_fma_f16 v10, v10, 2.0, -v43
	v_fma_f16 v98, v98, 2.0, -v44
	;; [unrolled: 1-line block ×12, first 2 shown]
	v_sub_f16_e32 v36, v43, v36
	v_add_f16_e32 v107, v44, v34
	v_sub_f16_e32 v42, v33, v42
	v_add_f16_e32 v35, v41, v35
	v_sub_f16_e32 v111, v14, v100
	v_fma_f16 v7, v5, 2.0, -v11
	v_fma_f16 v28, v28, 2.0, -v38
	v_add_f16_e32 v100, v6, v38
	v_sub_f16_e32 v15, v9, v15
	v_sub_f16_e32 v38, v45, v104
	v_add_f16_e32 v27, v101, v27
	v_fma_f16 v5, v37, 2.0, -v6
	v_fma_f16 v37, v135, 2.0, -v103
	v_sub_f16_e32 v16, v10, v16
	v_sub_f16_e32 v104, v98, v105
	;; [unrolled: 1-line block ×3, first 2 shown]
	v_add_f16_e32 v13, v97, v13
	v_sub_f16_e32 v52, v108, v52
	v_sub_f16_e32 v105, v102, v109
	;; [unrolled: 1-line block ×4, first 2 shown]
	v_fma_f16 v43, v43, 2.0, -v36
	v_fma_f16 v44, v44, 2.0, -v107
	v_sub_f16_e32 v34, v11, v103
	v_fma_f16 v103, v33, 2.0, -v42
	v_fma_f16 v41, v41, 2.0, -v35
	v_sub_f16_e32 v33, v7, v28
	v_pack_b32_f16 v28, v42, v35
	v_pack_b32_f16 v35, v36, v107
	v_fma_f16 v9, v9, 2.0, -v15
	v_fma_f16 v36, v45, 2.0, -v38
	;; [unrolled: 1-line block ×3, first 2 shown]
	v_sub_f16_e32 v101, v5, v37
	v_fma_f16 v10, v10, 2.0, -v16
	v_fma_f16 v37, v98, 2.0, -v104
	;; [unrolled: 1-line block ×6, first 2 shown]
	v_pack_b32_f16 v15, v15, v38
	v_fma_f16 v14, v14, 2.0, -v111
	v_fma_f16 v8, v8, 2.0, -v12
	v_fma_f16 v98, v106, 2.0, -v109
	v_pack_b32_f16 v13, v99, v13
	v_pack_b32_f16 v38, v43, v44
	;; [unrolled: 1-line block ×8, first 2 shown]
	ds_write2st64_b32 v92, v15, v28 offset0:4 offset1:6
	v_pack_b32_f16 v15, v42, v45
	v_pack_b32_f16 v14, v14, v110
	v_pack_b32_f16 v8, v8, v98
	v_pack_b32_f16 v27, v111, v27
	v_pack_b32_f16 v12, v12, v109
	ds_write2st64_b32 v91, v16, v35 offset0:4 offset1:6
	ds_write2st64_b32 v90, v44, v13 offset0:4 offset1:6
	ds_write2st64_b32 v92, v9, v41 offset1:2
	ds_write2st64_b32 v91, v10, v38 offset1:2
	;; [unrolled: 1-line block ×4, first 2 shown]
	ds_write2st64_b32 v89, v12, v27 offset0:4 offset1:6
	s_and_saveexec_b32 s1, vcc_lo
	s_cbranch_execz .LBB0_19
; %bb.18:
	v_fma_f16 v8, v11, 2.0, -v34
	v_fma_f16 v7, v7, 2.0, -v33
	v_and_or_b32 v9, 0x2600, v56, v84
	v_fma_f16 v5, v5, 2.0, -v101
	v_fma_f16 v6, v6, 2.0, -v100
	v_lshlrev_b32_e32 v9, 2, v9
	v_pack_b32_f16 v5, v7, v5
	v_pack_b32_f16 v6, v8, v6
	v_perm_b32 v7, v101, v33, 0x5040100
	v_perm_b32 v8, v100, v34, 0x5040100
	ds_write2st64_b32 v9, v5, v6 offset1:2
	ds_write2st64_b32 v9, v7, v8 offset0:4 offset1:6
.LBB0_19:
	s_or_b32 exec_lo, exec_lo, s1
	v_add_co_u32 v35, s1, s2, v39
	v_add_co_ci_u32_e64 v36, null, s3, 0, s1
	s_waitcnt lgkmcnt(0)
	s_barrier
	buffer_gl0_inv
	global_load_dwordx2 v[27:28], v[35:36], off offset:2032
	ds_read2st64_b32 v[9:10], v53 offset1:8
	ds_read2st64_b32 v[5:6], v53 offset0:32 offset1:48
	ds_read2st64_b32 v[15:16], v53 offset0:96 offset1:104
	;; [unrolled: 1-line block ×8, first 2 shown]
	v_mad_u64_u32 v[35:36], null, v0, 12, v[35:36]
	s_waitcnt vmcnt(0) lgkmcnt(0)
	s_barrier
	buffer_gl0_inv
	s_add_u32 s18, s16, 0x9000
	s_addc_u32 s19, s17, 0
	v_add_co_u32 v97, s2, 0x1000, v35
	v_add_co_u32 v102, s1, 0x1800, v35
	;; [unrolled: 1-line block ×3, first 2 shown]
	v_lshrrev_b32_e32 v45, 16, v6
	v_lshrrev_b32_e32 v52, 16, v15
	;; [unrolled: 1-line block ×18, first 2 shown]
	v_add_co_ci_u32_e64 v98, s2, 0, v36, s2
	v_mul_f16_sdwa v117, v45, v27 dst_sel:DWORD dst_unused:UNUSED_PAD src0_sel:DWORD src1_sel:WORD_1
	v_mul_f16_sdwa v118, v6, v27 dst_sel:DWORD dst_unused:UNUSED_PAD src0_sel:DWORD src1_sel:WORD_1
	;; [unrolled: 1-line block ×24, first 2 shown]
	v_fma_f16 v6, v6, v27, -v117
	v_fmac_f16_e32 v118, v45, v27
	v_fma_f16 v15, v15, v28, -v119
	v_fmac_f16_e32 v120, v52, v28
	;; [unrolled: 2-line block ×6, first 2 shown]
	v_fmac_f16_e32 v130, v109, v27
	v_fmac_f16_e32 v132, v110, v28
	v_fma_f16 v43, v43, v27, -v133
	v_fmac_f16_e32 v134, v112, v27
	v_fma_f16 v38, v38, v28, -v135
	;; [unrolled: 2-line block ×5, first 2 shown]
	v_fma_f16 v41, v41, v28, -v131
	v_add_f16_e32 v52, v6, v15
	v_add_f16_e32 v106, v118, v120
	;; [unrolled: 1-line block ×6, first 2 shown]
	v_sub_f16_e32 v99, v118, v120
	v_add_f16_e32 v103, v39, v118
	v_sub_f16_e32 v117, v126, v128
	v_add_f16_e32 v118, v105, v126
	v_add_f16_e32 v126, v130, v132
	;; [unrolled: 1-line block ×5, first 2 shown]
	v_sub_f16_e32 v137, v138, v140
	v_add_f16_e32 v139, v114, v138
	v_add_f16_e32 v138, v138, v140
	;; [unrolled: 1-line block ×3, first 2 shown]
	v_sub_f16_e32 v6, v6, v15
	v_sub_f16_e32 v110, v122, v124
	v_add_f16_e32 v112, v73, v122
	v_add_f16_e32 v122, v14, v41
	v_fma_f16 v9, -0.5, v52, v9
	v_fmac_f16_e32 v39, -0.5, v106
	v_add_f16_e32 v107, v10, v8
	v_sub_f16_e32 v8, v8, v16
	v_add_f16_e32 v115, v11, v13
	v_fmac_f16_e32 v10, -0.5, v109
	v_fmac_f16_e32 v73, -0.5, v113
	v_sub_f16_e32 v13, v13, v37
	v_fma_f16 v11, -0.5, v116, v11
	v_fmac_f16_e32 v105, -0.5, v119
	v_add_f16_e32 v121, v12, v14
	v_sub_f16_e32 v123, v130, v132
	v_add_f16_e32 v125, v108, v130
	v_sub_f16_e32 v14, v14, v41
	;; [unrolled: 2-line block ×5, first 2 shown]
	v_fmac_f16_e32 v108, -0.5, v126
	v_fmac_f16_e32 v5, -0.5, v129
	;; [unrolled: 1-line block ×5, first 2 shown]
	v_add_f16_e32 v15, v45, v15
	v_add_f16_e32 v45, v103, v120
	;; [unrolled: 1-line block ×3, first 2 shown]
	v_fmac_f16_e32 v12, -0.5, v122
	v_fmamk_f16 v112, v99, 0x3aee, v9
	v_fmac_f16_e32 v9, 0xbaee, v99
	v_fmamk_f16 v99, v6, 0xbaee, v39
	v_add_f16_e32 v16, v107, v16
	v_fmac_f16_e32 v39, 0x3aee, v6
	v_add_f16_e32 v37, v115, v37
	v_add_f16_e32 v103, v118, v128
	v_fmamk_f16 v6, v110, 0x3aee, v10
	v_fmac_f16_e32 v10, 0xbaee, v110
	v_fmamk_f16 v110, v8, 0xbaee, v73
	v_fmac_f16_e32 v73, 0x3aee, v8
	v_fmamk_f16 v8, v117, 0x3aee, v11
	v_fmamk_f16 v113, v13, 0xbaee, v105
	v_add_f16_e32 v41, v121, v41
	v_add_f16_e32 v106, v125, v132
	v_fmac_f16_e32 v11, 0xbaee, v117
	v_fmac_f16_e32 v105, 0x3aee, v13
	v_fmamk_f16 v115, v14, 0xbaee, v108
	v_fmac_f16_e32 v108, 0x3aee, v14
	v_fmamk_f16 v14, v130, 0x3aee, v5
	;; [unrolled: 2-line block ×5, first 2 shown]
	v_fmac_f16_e32 v114, 0x3aee, v44
	v_add_f16_e32 v38, v127, v38
	v_add_f16_e32 v107, v131, v136
	;; [unrolled: 1-line block ×4, first 2 shown]
	v_fmamk_f16 v13, v123, 0x3aee, v12
	v_fmac_f16_e32 v12, 0xbaee, v123
	v_pack_b32_f16 v15, v15, v45
	v_pack_b32_f16 v44, v112, v99
	;; [unrolled: 1-line block ×12, first 2 shown]
	v_add_co_ci_u32_e64 v103, s1, 0, v36, s1
	v_add_co_ci_u32_e64 v105, s1, 0, v36, s3
	v_pack_b32_f16 v38, v38, v107
	v_pack_b32_f16 v42, v42, v109
	;; [unrolled: 1-line block ×6, first 2 shown]
	ds_write2st64_b32 v53, v15, v44 offset1:8
	ds_write2st64_b32 v53, v9, v16 offset0:16 offset1:24
	ds_write2st64_b32 v53, v6, v37 offset0:32 offset1:48
	;; [unrolled: 1-line block ×8, first 2 shown]
	v_add_co_u32 v5, s1, 0x4000, v35
	v_add_co_u32 v7, s2, 0x6000, v35
	v_add_co_ci_u32_e64 v6, s1, 0, v36, s1
	v_add_co_ci_u32_e64 v8, s1, 0, v36, s2
	v_add_co_u32 v35, s1, 0x6800, v35
	v_add_co_ci_u32_e64 v36, s1, 0, v36, s1
	s_waitcnt lgkmcnt(0)
	s_barrier
	buffer_gl0_inv
	s_clause 0x5
	global_load_dwordx4 v[9:12], v[97:98], off offset:2032
	global_load_dword v99, v[102:103], off
	global_load_dwordx4 v[13:16], v[104:105], off offset:2032
	global_load_dword v98, v[5:6], off
	;; [unrolled: 2-line block ×3, first 2 shown]
	ds_read2st64_b32 v[44:45], v53 offset1:8
	ds_read2st64_b32 v[42:43], v53 offset0:16 offset1:24
	ds_read2st64_b32 v[103:104], v53 offset0:32 offset1:48
	;; [unrolled: 1-line block ×8, first 2 shown]
	v_add_co_u32 v52, s1, s18, v53
	v_add_co_ci_u32_e64 v102, null, s19, 0, s1
	v_add_co_u32 v35, s4, 0x2000, v52
	v_add_co_ci_u32_e64 v36, s4, 0, v102, s4
	v_add_co_u32 v37, s1, 0x6800, v52
	v_add_co_u32 v39, s2, 0x2800, v52
	s_waitcnt lgkmcnt(7)
	v_lshrrev_b32_e32 v73, 16, v43
	s_waitcnt lgkmcnt(6)
	v_lshrrev_b32_e32 v119, 16, v104
	;; [unrolled: 2-line block ×8, first 2 shown]
	v_lshrrev_b32_e32 v126, 16, v103
	v_lshrrev_b32_e32 v129, 16, v108
	;; [unrolled: 1-line block ×10, first 2 shown]
	v_add_co_u32 v41, s3, 0x7000, v52
	v_add_co_u32 v115, s5, 0x3000, v52
	;; [unrolled: 1-line block ×5, first 2 shown]
	s_waitcnt vmcnt(5)
	v_mul_f16_sdwa v137, v73, v9 dst_sel:DWORD dst_unused:UNUSED_PAD src0_sel:DWORD src1_sel:WORD_1
	v_mul_f16_sdwa v138, v43, v9 dst_sel:DWORD dst_unused:UNUSED_PAD src0_sel:DWORD src1_sel:WORD_1
	;; [unrolled: 1-line block ×8, first 2 shown]
	s_waitcnt vmcnt(4)
	v_mul_f16_sdwa v145, v124, v99 dst_sel:DWORD dst_unused:UNUSED_PAD src0_sel:DWORD src1_sel:WORD_1
	v_mul_f16_sdwa v146, v109, v99 dst_sel:DWORD dst_unused:UNUSED_PAD src0_sel:DWORD src1_sel:WORD_1
	s_waitcnt vmcnt(3)
	v_mul_f16_sdwa v149, v127, v14 dst_sel:DWORD dst_unused:UNUSED_PAD src0_sel:DWORD src1_sel:WORD_1
	v_mul_f16_sdwa v150, v112, v14 dst_sel:DWORD dst_unused:UNUSED_PAD src0_sel:DWORD src1_sel:WORD_1
	v_mul_f16_sdwa v151, v128, v15 dst_sel:DWORD dst_unused:UNUSED_PAD src0_sel:DWORD src1_sel:WORD_1
	v_mul_f16_sdwa v152, v113, v15 dst_sel:DWORD dst_unused:UNUSED_PAD src0_sel:DWORD src1_sel:WORD_1
	v_mul_f16_sdwa v154, v108, v16 dst_sel:DWORD dst_unused:UNUSED_PAD src0_sel:DWORD src1_sel:WORD_1
	s_waitcnt vmcnt(2)
	v_mul_f16_sdwa v155, v130, v98 dst_sel:DWORD dst_unused:UNUSED_PAD src0_sel:DWORD src1_sel:WORD_1
	v_mul_f16_sdwa v156, v117, v98 dst_sel:DWORD dst_unused:UNUSED_PAD src0_sel:DWORD src1_sel:WORD_1
	v_mul_f16_sdwa v147, v126, v13 dst_sel:DWORD dst_unused:UNUSED_PAD src0_sel:DWORD src1_sel:WORD_1
	;; [unrolled: 6-line block ×3, first 2 shown]
	v_mul_f16_sdwa v164, v116, v8 dst_sel:DWORD dst_unused:UNUSED_PAD src0_sel:DWORD src1_sel:WORD_1
	s_waitcnt vmcnt(0)
	v_mul_f16_sdwa v165, v136, v97 dst_sel:DWORD dst_unused:UNUSED_PAD src0_sel:DWORD src1_sel:WORD_1
	v_mul_f16_sdwa v166, v110, v97 dst_sel:DWORD dst_unused:UNUSED_PAD src0_sel:DWORD src1_sel:WORD_1
	;; [unrolled: 1-line block ×5, first 2 shown]
	v_fma_f16 v43, v43, v9, -v137
	v_fmac_f16_e32 v138, v73, v9
	v_fma_f16 v73, v104, v10, -v139
	v_fmac_f16_e32 v140, v119, v10
	;; [unrolled: 2-line block ×7, first 2 shown]
	v_fmac_f16_e32 v154, v129, v16
	v_fma_f16 v113, v117, v98, -v155
	v_fmac_f16_e32 v156, v130, v98
	v_mul_f16_sdwa v163, v135, v8 dst_sel:DWORD dst_unused:UNUSED_PAD src0_sel:DWORD src1_sel:WORD_1
	v_fma_f16 v103, v103, v13, -v147
	v_fmac_f16_e32 v148, v126, v13
	v_fma_f16 v108, v108, v16, -v153
	v_fmac_f16_e32 v160, v133, v6
	;; [unrolled: 2-line block ×3, first 2 shown]
	v_fmac_f16_e32 v164, v135, v8
	v_fma_f16 v110, v110, v97, -v165
	v_fmac_f16_e32 v166, v136, v97
	v_fma_f16 v111, v111, v5, -v157
	;; [unrolled: 2-line block ×3, first 2 shown]
	v_add_f16_e32 v117, v44, v73
	v_add_f16_e32 v119, v73, v106
	;; [unrolled: 1-line block ×6, first 2 shown]
	v_sub_f16_e32 v128, v142, v146
	v_add_f16_e32 v129, v138, v142
	v_add_f16_e32 v130, v142, v146
	;; [unrolled: 1-line block ×5, first 2 shown]
	v_fma_f16 v116, v116, v8, -v163
	v_sub_f16_e32 v121, v140, v144
	v_add_f16_e32 v132, v45, v109
	v_add_f16_e32 v133, v109, v108
	v_sub_f16_e32 v134, v150, v154
	v_add_f16_e32 v135, v125, v150
	v_add_f16_e32 v137, v103, v112
	;; [unrolled: 3-line block ×3, first 2 shown]
	v_add_f16_e32 v152, v114, v110
	v_add_f16_e32 v157, v162, v166
	v_sub_f16_e32 v73, v73, v106
	v_sub_f16_e32 v104, v104, v107
	;; [unrolled: 1-line block ×4, first 2 shown]
	v_add_f16_e32 v143, v42, v105
	v_add_f16_e32 v149, v131, v160
	;; [unrolled: 1-line block ×5, first 2 shown]
	v_fma_f16 v44, -0.5, v119, v44
	v_add_f16_e32 v117, v123, v144
	v_fmac_f16_e32 v38, -0.5, v124
	v_add_f16_e32 v107, v126, v107
	v_fmac_f16_e32 v43, -0.5, v127
	;; [unrolled: 2-line block ×3, first 2 shown]
	v_fmac_f16_e32 v125, -0.5, v136
	v_fmac_f16_e32 v103, -0.5, v139
	;; [unrolled: 1-line block ×3, first 2 shown]
	v_add_f16_e32 v145, v105, v116
	v_sub_f16_e32 v105, v105, v116
	v_sub_f16_e32 v153, v162, v166
	;; [unrolled: 1-line block ×3, first 2 shown]
	v_add_f16_e32 v108, v132, v108
	v_fmac_f16_e32 v45, -0.5, v133
	v_add_f16_e32 v123, v135, v154
	v_add_f16_e32 v113, v137, v113
	;; [unrolled: 1-line block ×3, first 2 shown]
	v_fmac_f16_e32 v131, -0.5, v150
	v_fmac_f16_e32 v111, -0.5, v152
	;; [unrolled: 1-line block ×3, first 2 shown]
	v_add_f16_e32 v116, v143, v116
	v_add_f16_e32 v126, v149, v164
	;; [unrolled: 1-line block ×4, first 2 shown]
	v_fmamk_f16 v129, v121, 0x3aee, v44
	v_fmac_f16_e32 v44, 0xbaee, v121
	v_fmamk_f16 v121, v73, 0xbaee, v38
	v_fmac_f16_e32 v38, 0x3aee, v73
	;; [unrolled: 2-line block ×4, first 2 shown]
	v_add_f16_e32 v104, v106, v107
	v_add_f16_e32 v130, v117, v119
	v_sub_f16_e32 v106, v106, v107
	v_sub_f16_e32 v107, v117, v119
	v_fmamk_f16 v119, v109, 0xbaee, v125
	v_fmac_f16_e32 v125, 0x3aee, v109
	v_fmamk_f16 v109, v140, 0x3aee, v103
	v_fmamk_f16 v132, v112, 0xbaee, v148
	v_fmamk_f16 v117, v134, 0x3aee, v45
	v_fmac_f16_e32 v45, 0xbaee, v134
	v_fmac_f16_e32 v103, 0xbaee, v140
	;; [unrolled: 1-line block ×3, first 2 shown]
	v_add_f16_e32 v112, v108, v113
	v_add_f16_e32 v133, v123, v124
	v_sub_f16_e32 v108, v108, v113
	v_sub_f16_e32 v113, v123, v124
	v_fmamk_f16 v124, v105, 0xbaee, v131
	v_fmac_f16_e32 v131, 0x3aee, v105
	v_fmamk_f16 v105, v153, 0x3aee, v111
	v_fmamk_f16 v134, v114, 0xbaee, v158
	v_fmac_f16_e32 v111, 0xbaee, v153
	v_fmac_f16_e32 v158, 0x3aee, v114
	v_add_f16_e32 v114, v116, v110
	v_add_f16_e32 v135, v126, v127
	v_sub_f16_e32 v110, v116, v110
	v_sub_f16_e32 v116, v126, v127
	v_mul_f16_e32 v126, 0x3aee, v128
	v_mul_f16_e32 v127, -0.5, v43
	v_mul_f16_e32 v136, 0xbaee, v73
	v_mul_f16_e32 v137, -0.5, v138
	v_mul_f16_e32 v139, 0x3aee, v132
	v_mul_f16_e32 v141, 0xbaee, v109
	v_sub_f16_e32 v147, v160, v164
	v_fmac_f16_e32 v42, -0.5, v145
	v_mul_f16_e32 v140, -0.5, v103
	v_mul_f16_e32 v142, -0.5, v148
	v_mul_f16_e32 v143, 0x3aee, v134
	v_mul_f16_e32 v145, 0xbaee, v105
	v_mul_f16_e32 v144, -0.5, v111
	v_mul_f16_e32 v146, -0.5, v158
	v_pack_b32_f16 v104, v104, v130
	v_pack_b32_f16 v106, v106, v107
	;; [unrolled: 1-line block ×3, first 2 shown]
	v_fmac_f16_e32 v126, 0.5, v73
	v_fmac_f16_e32 v127, 0x3aee, v138
	v_fmac_f16_e32 v136, 0.5, v128
	v_fmac_f16_e32 v137, 0xbaee, v43
	v_fmac_f16_e32 v139, 0.5, v109
	v_fmac_f16_e32 v141, 0.5, v132
	v_pack_b32_f16 v108, v108, v113
	v_pack_b32_f16 v110, v110, v116
	v_fmamk_f16 v123, v147, 0x3aee, v42
	v_fmac_f16_e32 v140, 0x3aee, v148
	v_fmac_f16_e32 v142, 0xbaee, v103
	v_fmac_f16_e32 v143, 0.5, v105
	v_fmac_f16_e32 v145, 0.5, v134
	v_fmac_f16_e32 v42, 0xbaee, v147
	v_fmac_f16_e32 v144, 0x3aee, v158
	;; [unrolled: 1-line block ×3, first 2 shown]
	ds_write2st64_b32 v53, v104, v107 offset1:8
	ds_write2st64_b32 v53, v108, v110 offset0:80 offset1:88
	v_add_f16_e32 v73, v129, v126
	v_add_f16_e32 v105, v44, v127
	;; [unrolled: 1-line block ×6, first 2 shown]
	v_sub_f16_e32 v109, v129, v126
	v_sub_f16_e32 v111, v121, v136
	;; [unrolled: 1-line block ×4, first 2 shown]
	v_pack_b32_f16 v112, v114, v135
	v_sub_f16_e32 v110, v44, v127
	v_sub_f16_e32 v38, v38, v137
	v_add_f16_e32 v114, v45, v140
	v_add_f16_e32 v121, v125, v142
	;; [unrolled: 1-line block ×6, first 2 shown]
	v_sub_f16_e32 v45, v45, v140
	v_sub_f16_e32 v125, v125, v142
	;; [unrolled: 1-line block ×6, first 2 shown]
	v_pack_b32_f16 v42, v73, v107
	v_pack_b32_f16 v73, v105, v108
	;; [unrolled: 1-line block ×12, first 2 shown]
	ds_write2st64_b32 v53, v107, v73 offset0:32 offset1:48
	ds_write2st64_b32 v53, v105, v109 offset0:96 offset1:104
	;; [unrolled: 1-line block ×7, first 2 shown]
	v_add_co_ci_u32_e64 v38, s1, 0, v102, s1
	s_waitcnt lgkmcnt(0)
	s_barrier
	buffer_gl0_inv
	s_clause 0x2
	global_load_dword v107, v53, s[18:19]
	global_load_dword v108, v[35:36], off offset:1024
	global_load_dword v109, v40, s[18:19]
	v_add_co_ci_u32_e64 v40, s1, 0, v102, s2
	v_add_co_ci_u32_e64 v42, s1, 0, v102, s3
	;; [unrolled: 1-line block ×4, first 2 shown]
	s_clause 0x1
	global_load_dword v110, v[37:38], off offset:1024
	global_load_dword v111, v47, s[18:19]
	v_add_co_ci_u32_e64 v121, s1, 0, v102, s7
	s_clause 0x1
	global_load_dword v112, v[39:40], off offset:1024
	global_load_dword v113, v46, s[18:19]
	v_add_co_ci_u32_e64 v123, s1, 0, v102, s8
	s_clause 0x8
	global_load_dword v114, v[41:42], off offset:1024
	global_load_dword v51, v51, s[18:19]
	global_load_dword v115, v[115:116], off offset:1024
	global_load_dword v116, v48, s[18:19]
	;; [unrolled: 2-line block ×4, first 2 shown]
	global_load_dword v121, v[122:123], off offset:1024
	ds_read2st64_b32 v[35:36], v53 offset1:8
	ds_read2st64_b32 v[37:38], v53 offset0:36 offset1:44
	ds_read2st64_b32 v[39:40], v53 offset0:72 offset1:80
	;; [unrolled: 1-line block ×7, first 2 shown]
	v_or_b32_e32 v73, 0x1a00, v0
	v_lshlrev_b32_e32 v73, 2, v73
	s_waitcnt lgkmcnt(7)
	v_lshrrev_b32_e32 v122, 16, v35
	v_lshrrev_b32_e32 v126, 16, v36
	s_waitcnt lgkmcnt(6)
	v_lshrrev_b32_e32 v123, 16, v37
	v_lshrrev_b32_e32 v127, 16, v38
	s_waitcnt lgkmcnt(5)
	v_lshrrev_b32_e32 v124, 16, v39
	v_lshrrev_b32_e32 v128, 16, v40
	s_waitcnt lgkmcnt(4)
	v_lshrrev_b32_e32 v125, 16, v41
	v_lshrrev_b32_e32 v129, 16, v42
	s_waitcnt lgkmcnt(3)
	v_lshrrev_b32_e32 v130, 16, v45
	v_lshrrev_b32_e32 v134, 16, v46
	s_waitcnt lgkmcnt(2)
	v_lshrrev_b32_e32 v131, 16, v47
	s_waitcnt lgkmcnt(1)
	v_lshrrev_b32_e32 v132, 16, v49
	;; [unrolled: 2-line block ×3, first 2 shown]
	v_lshrrev_b32_e32 v135, 16, v48
	v_lshrrev_b32_e32 v136, 16, v50
	;; [unrolled: 1-line block ×3, first 2 shown]
	s_waitcnt vmcnt(15)
	v_mul_f16_sdwa v138, v122, v107 dst_sel:DWORD dst_unused:UNUSED_PAD src0_sel:DWORD src1_sel:WORD_1
	v_mul_f16_sdwa v139, v35, v107 dst_sel:DWORD dst_unused:UNUSED_PAD src0_sel:DWORD src1_sel:WORD_1
	s_waitcnt vmcnt(14)
	v_mul_f16_sdwa v140, v123, v108 dst_sel:DWORD dst_unused:UNUSED_PAD src0_sel:DWORD src1_sel:WORD_1
	v_mul_f16_sdwa v141, v37, v108 dst_sel:DWORD dst_unused:UNUSED_PAD src0_sel:DWORD src1_sel:WORD_1
	;; [unrolled: 3-line block ×3, first 2 shown]
	v_fma_f16 v35, v35, v107, -v138
	v_fmac_f16_e32 v139, v122, v107
	v_fma_f16 v37, v37, v108, -v140
	s_waitcnt vmcnt(12)
	v_mul_f16_sdwa v144, v125, v110 dst_sel:DWORD dst_unused:UNUSED_PAD src0_sel:DWORD src1_sel:WORD_1
	s_waitcnt vmcnt(11)
	v_mul_f16_sdwa v146, v126, v111 dst_sel:DWORD dst_unused:UNUSED_PAD src0_sel:DWORD src1_sel:WORD_1
	v_mul_f16_sdwa v147, v36, v111 dst_sel:DWORD dst_unused:UNUSED_PAD src0_sel:DWORD src1_sel:WORD_1
	s_waitcnt vmcnt(10)
	v_mul_f16_sdwa v148, v127, v112 dst_sel:DWORD dst_unused:UNUSED_PAD src0_sel:DWORD src1_sel:WORD_1
	;; [unrolled: 3-line block ×3, first 2 shown]
	v_mul_f16_sdwa v151, v40, v113 dst_sel:DWORD dst_unused:UNUSED_PAD src0_sel:DWORD src1_sel:WORD_1
	v_mul_f16_sdwa v145, v41, v110 dst_sel:DWORD dst_unused:UNUSED_PAD src0_sel:DWORD src1_sel:WORD_1
	s_waitcnt vmcnt(8)
	v_mul_f16_sdwa v152, v129, v114 dst_sel:DWORD dst_unused:UNUSED_PAD src0_sel:DWORD src1_sel:WORD_1
	v_mul_f16_sdwa v153, v42, v114 dst_sel:DWORD dst_unused:UNUSED_PAD src0_sel:DWORD src1_sel:WORD_1
	s_waitcnt vmcnt(7)
	;; [unrolled: 3-line block ×3, first 2 shown]
	v_mul_f16_sdwa v162, v134, v118 dst_sel:DWORD dst_unused:UNUSED_PAD src0_sel:DWORD src1_sel:WORD_1
	v_mul_f16_sdwa v163, v46, v118 dst_sel:DWORD dst_unused:UNUSED_PAD src0_sel:DWORD src1_sel:WORD_1
	;; [unrolled: 1-line block ×8, first 2 shown]
	s_waitcnt vmcnt(2)
	v_mul_f16_sdwa v164, v135, v119 dst_sel:DWORD dst_unused:UNUSED_PAD src0_sel:DWORD src1_sel:WORD_1
	v_mul_f16_sdwa v165, v48, v119 dst_sel:DWORD dst_unused:UNUSED_PAD src0_sel:DWORD src1_sel:WORD_1
	s_waitcnt vmcnt(1)
	v_mul_f16_sdwa v166, v136, v120 dst_sel:DWORD dst_unused:UNUSED_PAD src0_sel:DWORD src1_sel:WORD_1
	v_mul_f16_sdwa v167, v50, v120 dst_sel:DWORD dst_unused:UNUSED_PAD src0_sel:DWORD src1_sel:WORD_1
	;; [unrolled: 3-line block ×3, first 2 shown]
	v_fma_f16 v36, v36, v111, -v146
	v_fmac_f16_e32 v147, v126, v111
	v_fmac_f16_e32 v141, v123, v108
	v_fma_f16 v38, v38, v112, -v148
	v_fmac_f16_e32 v149, v127, v112
	v_fma_f16 v39, v39, v109, -v142
	;; [unrolled: 2-line block ×13, first 2 shown]
	v_fmac_f16_e32 v169, v137, v121
	v_pack_b32_f16 v35, v35, v139
	v_pack_b32_f16 v36, v36, v147
	;; [unrolled: 1-line block ×16, first 2 shown]
	ds_write2st64_b32 v53, v35, v36 offset1:8
	ds_write2st64_b32 v53, v37, v38 offset0:36 offset1:44
	ds_write2st64_b32 v53, v39, v40 offset0:72 offset1:80
	;; [unrolled: 1-line block ×7, first 2 shown]
	s_and_saveexec_b32 s2, vcc_lo
	s_cbranch_execz .LBB0_21
; %bb.20:
	v_add_co_u32 v35, s1, 0x4000, v52
	v_add_co_ci_u32_e64 v36, s1, 0, v102, s1
	v_add_co_u32 v37, s1, 0x8800, v52
	s_clause 0x1
	global_load_dword v39, v56, s[18:19]
	global_load_dword v40, v73, s[18:19]
	v_add_co_ci_u32_e64 v38, s1, 0, v102, s1
	s_clause 0x1
	global_load_dword v41, v[35:36], off offset:1024
	global_load_dword v42, v[37:38], off offset:1024
	ds_read2st64_b32 v[35:36], v53 offset0:32 offset1:68
	ds_read2st64_b32 v[37:38], v53 offset0:104 offset1:140
	s_waitcnt lgkmcnt(1)
	v_lshrrev_b32_e32 v45, 16, v35
	s_waitcnt lgkmcnt(0)
	v_lshrrev_b32_e32 v46, 16, v37
	v_lshrrev_b32_e32 v47, 16, v36
	;; [unrolled: 1-line block ×3, first 2 shown]
	s_waitcnt vmcnt(3)
	v_mul_f16_sdwa v48, v45, v39 dst_sel:DWORD dst_unused:UNUSED_PAD src0_sel:DWORD src1_sel:WORD_1
	v_mul_f16_sdwa v49, v35, v39 dst_sel:DWORD dst_unused:UNUSED_PAD src0_sel:DWORD src1_sel:WORD_1
	s_waitcnt vmcnt(2)
	v_mul_f16_sdwa v51, v46, v40 dst_sel:DWORD dst_unused:UNUSED_PAD src0_sel:DWORD src1_sel:WORD_1
	v_mul_f16_sdwa v52, v37, v40 dst_sel:DWORD dst_unused:UNUSED_PAD src0_sel:DWORD src1_sel:WORD_1
	v_fma_f16 v35, v35, v39, -v48
	v_fmac_f16_e32 v49, v45, v39
	s_waitcnt vmcnt(1)
	v_mul_f16_sdwa v39, v47, v41 dst_sel:DWORD dst_unused:UNUSED_PAD src0_sel:DWORD src1_sel:WORD_1
	v_mul_f16_sdwa v45, v36, v41 dst_sel:DWORD dst_unused:UNUSED_PAD src0_sel:DWORD src1_sel:WORD_1
	v_fma_f16 v37, v37, v40, -v51
	s_waitcnt vmcnt(0)
	v_mul_f16_sdwa v48, v50, v42 dst_sel:DWORD dst_unused:UNUSED_PAD src0_sel:DWORD src1_sel:WORD_1
	v_mul_f16_sdwa v51, v38, v42 dst_sel:DWORD dst_unused:UNUSED_PAD src0_sel:DWORD src1_sel:WORD_1
	v_fma_f16 v36, v36, v41, -v39
	v_fmac_f16_e32 v45, v47, v41
	v_fmac_f16_e32 v52, v46, v40
	v_fma_f16 v38, v38, v42, -v48
	v_fmac_f16_e32 v51, v50, v42
	v_pack_b32_f16 v35, v35, v49
	v_pack_b32_f16 v36, v36, v45
	;; [unrolled: 1-line block ×4, first 2 shown]
	ds_write2st64_b32 v53, v35, v36 offset0:32 offset1:68
	ds_write2st64_b32 v53, v37, v38 offset0:104 offset1:140
.LBB0_21:
	s_or_b32 exec_lo, exec_lo, s2
	s_waitcnt lgkmcnt(0)
	s_barrier
	buffer_gl0_inv
	ds_read2st64_b32 v[41:42], v53 offset1:8
	ds_read2st64_b32 v[45:46], v53 offset0:36 offset1:44
	ds_read2st64_b32 v[49:50], v53 offset0:72 offset1:80
	;; [unrolled: 1-line block ×7, first 2 shown]
	s_and_saveexec_b32 s1, vcc_lo
	s_cbranch_execz .LBB0_23
; %bb.22:
	ds_read2st64_b32 v[43:44], v53 offset0:32 offset1:68
	ds_read2st64_b32 v[33:34], v53 offset0:104 offset1:140
	s_waitcnt lgkmcnt(1)
	v_lshrrev_b32_e32 v104, 16, v43
	v_lshrrev_b32_e32 v103, 16, v44
	s_waitcnt lgkmcnt(0)
	v_lshrrev_b32_e32 v101, 16, v33
	v_lshrrev_b32_e32 v100, 16, v34
.LBB0_23:
	s_or_b32 exec_lo, exec_lo, s1
	s_waitcnt lgkmcnt(5)
	v_pk_add_f16 v49, v41, v49 neg_lo:[0,1] neg_hi:[0,1]
	s_waitcnt lgkmcnt(4)
	v_pk_add_f16 v51, v45, v51 neg_lo:[0,1] neg_hi:[0,1]
	;; [unrolled: 2-line block ×3, first 2 shown]
	v_pk_add_f16 v50, v42, v50 neg_lo:[0,1] neg_hi:[0,1]
	v_pk_add_f16 v114, v36, v38 neg_lo:[0,1] neg_hi:[0,1]
	v_lshrrev_b32_e32 v37, 16, v49
	v_pk_add_f16 v52, v46, v52 neg_lo:[0,1] neg_hi:[0,1]
	s_waitcnt lgkmcnt(0)
	v_pk_add_f16 v48, v40, v48 neg_lo:[0,1] neg_hi:[0,1]
	v_lshrrev_b32_e32 v102, 16, v50
	v_sub_f16_e32 v120, v43, v33
	v_sub_f16_e32 v108, v37, v51
	;; [unrolled: 1-line block ×6, first 2 shown]
	v_fma_f16 v113, v37, 2.0, -v108
	v_lshrrev_b32_e32 v37, 16, v114
	v_fma_f16 v43, v43, 2.0, -v120
	v_fma_f16 v100, v104, 2.0, -v121
	;; [unrolled: 1-line block ×4, first 2 shown]
	v_sub_f16_e32 v122, v37, v48
	v_pk_add_f16 v47, v39, v47 neg_lo:[0,1] neg_hi:[0,1]
	v_lshrrev_b32_e32 v110, 16, v105
	v_add_f16_sdwa v106, v49, v51 dst_sel:DWORD dst_unused:UNUSED_PAD src0_sel:DWORD src1_sel:WORD_1
	v_fma_f16 v116, v102, 2.0, -v112
	v_fma_f16 v123, v37, 2.0, -v122
	v_sub_f16_e32 v37, v43, v38
	v_sub_f16_e32 v102, v100, v44
	v_pk_fma_f16 v41, v41, 2.0, v49 op_sel_hi:[1,0,1] neg_lo:[0,0,1] neg_hi:[0,0,1]
	v_pk_fma_f16 v44, v45, 2.0, v51 op_sel_hi:[1,0,1] neg_lo:[0,0,1] neg_hi:[0,0,1]
	v_add_f16_sdwa v107, v50, v52 dst_sel:DWORD dst_unused:UNUSED_PAD src0_sel:DWORD src1_sel:WORD_1
	v_pk_fma_f16 v45, v42, 2.0, v50 op_sel_hi:[1,0,1] neg_lo:[0,0,1] neg_hi:[0,0,1]
	v_pk_fma_f16 v42, v46, 2.0, v52 op_sel_hi:[1,0,1] neg_lo:[0,0,1] neg_hi:[0,0,1]
	v_add_f16_sdwa v109, v105, v47 dst_sel:DWORD dst_unused:UNUSED_PAD src0_sel:DWORD src1_sel:WORD_1
	v_sub_f16_e32 v117, v110, v47
	v_pk_fma_f16 v35, v35, 2.0, v105 op_sel_hi:[1,0,1] neg_lo:[0,0,1] neg_hi:[0,0,1]
	v_pk_fma_f16 v39, v39, 2.0, v47 op_sel_hi:[1,0,1] neg_lo:[0,0,1] neg_hi:[0,0,1]
	v_add_f16_sdwa v119, v114, v48 dst_sel:DWORD dst_unused:UNUSED_PAD src0_sel:DWORD src1_sel:WORD_1
	v_pk_fma_f16 v36, v36, 2.0, v114 op_sel_hi:[1,0,1] neg_lo:[0,0,1] neg_hi:[0,0,1]
	v_pk_fma_f16 v40, v40, 2.0, v48 op_sel_hi:[1,0,1] neg_lo:[0,0,1] neg_hi:[0,0,1]
	v_fma_f16 v111, v49, 2.0, -v106
	v_add_f16_e32 v38, v34, v120
	v_sub_f16_e32 v101, v121, v33
	v_fma_f16 v33, v43, 2.0, -v37
	v_pk_add_f16 v43, v41, v44 neg_lo:[0,1] neg_hi:[0,1]
	v_fma_f16 v115, v50, 2.0, -v107
	v_pk_add_f16 v47, v45, v42 neg_lo:[0,1] neg_hi:[0,1]
	v_fma_f16 v118, v105, 2.0, -v109
	v_fma_f16 v104, v110, 2.0, -v117
	v_pk_add_f16 v51, v35, v39 neg_lo:[0,1] neg_hi:[0,1]
	v_fma_f16 v110, v114, 2.0, -v119
	v_pack_b32_f16 v44, v106, v108
	v_pk_add_f16 v106, v36, v40 neg_lo:[0,1] neg_hi:[0,1]
	v_fma_f16 v100, v100, 2.0, -v102
	v_fma_f16 v34, v120, 2.0, -v38
	;; [unrolled: 1-line block ×3, first 2 shown]
	v_pk_fma_f16 v41, v41, 2.0, v43 op_sel_hi:[1,0,1] neg_lo:[0,0,1] neg_hi:[0,0,1]
	v_pack_b32_f16 v42, v111, v113
	v_pk_fma_f16 v45, v45, 2.0, v47 op_sel_hi:[1,0,1] neg_lo:[0,0,1] neg_hi:[0,0,1]
	v_pack_b32_f16 v48, v107, v112
	v_pack_b32_f16 v46, v115, v116
	v_pk_fma_f16 v49, v35, 2.0, v51 op_sel_hi:[1,0,1] neg_lo:[0,0,1] neg_hi:[0,0,1]
	v_pack_b32_f16 v52, v109, v117
	;; [unrolled: 3-line block ×3, first 2 shown]
	v_pack_b32_f16 v105, v110, v123
	s_barrier
	buffer_gl0_inv
	ds_write_b128 v77, v[41:44]
	ds_write_b128 v79, v[45:48]
	;; [unrolled: 1-line block ×4, first 2 shown]
	s_and_saveexec_b32 s1, vcc_lo
	s_cbranch_execz .LBB0_25
; %bb.24:
	v_perm_b32 v42, v101, v38, 0x5040100
	v_perm_b32 v41, v102, v37, 0x5040100
	;; [unrolled: 1-line block ×4, first 2 shown]
	ds_write_b128 v81, v[39:42]
.LBB0_25:
	s_or_b32 exec_lo, exec_lo, s1
	s_waitcnt lgkmcnt(0)
	s_barrier
	buffer_gl0_inv
	ds_read2st64_b32 v[35:36], v53 offset1:8
	ds_read2st64_b32 v[51:52], v53 offset0:18 offset1:26
	ds_read2st64_b32 v[49:50], v53 offset0:36 offset1:44
	;; [unrolled: 1-line block ×7, first 2 shown]
	s_and_saveexec_b32 s1, s0
	s_cbranch_execz .LBB0_27
; %bb.26:
	ds_read2st64_b32 v[33:34], v53 offset0:16 offset1:34
	ds_read2st64_b32 v[37:38], v53 offset0:52 offset1:70
	;; [unrolled: 1-line block ×4, first 2 shown]
	s_waitcnt lgkmcnt(3)
	v_lshrrev_b32_e32 v100, 16, v33
	v_lshrrev_b32_e32 v103, 16, v34
	s_waitcnt lgkmcnt(2)
	v_lshrrev_b32_e32 v102, 16, v37
	v_lshrrev_b32_e32 v101, 16, v38
	;; [unrolled: 3-line block ×4, first 2 shown]
.LBB0_27:
	s_or_b32 exec_lo, exec_lo, s1
	s_waitcnt lgkmcnt(6)
	v_lshrrev_b32_e32 v79, 16, v51
	s_waitcnt lgkmcnt(5)
	v_lshrrev_b32_e32 v81, 16, v49
	;; [unrolled: 2-line block ×3, first 2 shown]
	v_mul_f16_sdwa v115, v1, v51 dst_sel:DWORD dst_unused:UNUSED_PAD src0_sel:WORD_1 src1_sel:DWORD
	s_waitcnt lgkmcnt(3)
	v_lshrrev_b32_e32 v83, 16, v45
	v_mul_f16_sdwa v112, v1, v79 dst_sel:DWORD dst_unused:UNUSED_PAD src0_sel:WORD_1 src1_sel:DWORD
	s_waitcnt lgkmcnt(2)
	v_lshrrev_b32_e32 v104, 16, v43
	s_waitcnt lgkmcnt(1)
	v_lshrrev_b32_e32 v105, 16, v41
	v_mul_f16_sdwa v117, v2, v49 dst_sel:DWORD dst_unused:UNUSED_PAD src0_sel:WORD_1 src1_sel:DWORD
	v_fma_f16 v79, v1, v79, -v115
	v_fmac_f16_e32 v112, v1, v51
	v_mul_f16_sdwa v51, v2, v81 dst_sel:DWORD dst_unused:UNUSED_PAD src0_sel:WORD_1 src1_sel:DWORD
	v_mul_f16_sdwa v115, v3, v82 dst_sel:DWORD dst_unused:UNUSED_PAD src0_sel:WORD_1 src1_sel:DWORD
	;; [unrolled: 1-line block ×3, first 2 shown]
	s_waitcnt lgkmcnt(0)
	v_lshrrev_b32_e32 v106, 16, v39
	v_lshrrev_b32_e32 v108, 16, v52
	v_fmac_f16_e32 v51, v2, v49
	v_fma_f16 v49, v2, v81, -v117
	v_mul_f16_sdwa v81, v4, v83 dst_sel:DWORD dst_unused:UNUSED_PAD src0_sel:WORD_1 src1_sel:DWORD
	v_fmac_f16_e32 v115, v3, v47
	v_fma_f16 v47, v3, v82, -v118
	v_mul_f16_sdwa v82, v4, v45 dst_sel:DWORD dst_unused:UNUSED_PAD src0_sel:WORD_1 src1_sel:DWORD
	v_mul_f16_sdwa v117, v17, v104 dst_sel:DWORD dst_unused:UNUSED_PAD src0_sel:WORD_1 src1_sel:DWORD
	;; [unrolled: 1-line block ×3, first 2 shown]
	v_lshrrev_b32_e32 v109, 16, v50
	v_lshrrev_b32_e32 v110, 16, v48
	v_fmac_f16_e32 v81, v4, v45
	v_mul_f16_sdwa v45, v17, v43 dst_sel:DWORD dst_unused:UNUSED_PAD src0_sel:WORD_1 src1_sel:DWORD
	v_fma_f16 v82, v4, v83, -v82
	v_fmac_f16_e32 v117, v17, v43
	v_mul_f16_sdwa v43, v18, v41 dst_sel:DWORD dst_unused:UNUSED_PAD src0_sel:WORD_1 src1_sel:DWORD
	v_fmac_f16_e32 v118, v18, v41
	v_mul_f16_sdwa v41, v19, v106 dst_sel:DWORD dst_unused:UNUSED_PAD src0_sel:WORD_1 src1_sel:DWORD
	v_mul_f16_sdwa v83, v19, v39 dst_sel:DWORD dst_unused:UNUSED_PAD src0_sel:WORD_1 src1_sel:DWORD
	v_lshrrev_b32_e32 v111, 16, v46
	v_fma_f16 v45, v17, v104, -v45
	v_fma_f16 v43, v18, v105, -v43
	v_mul_f16_sdwa v104, v1, v108 dst_sel:DWORD dst_unused:UNUSED_PAD src0_sel:WORD_1 src1_sel:DWORD
	v_mul_f16_sdwa v105, v1, v52 dst_sel:DWORD dst_unused:UNUSED_PAD src0_sel:WORD_1 src1_sel:DWORD
	v_fmac_f16_e32 v41, v19, v39
	v_fma_f16 v39, v19, v106, -v83
	v_mul_f16_sdwa v83, v2, v109 dst_sel:DWORD dst_unused:UNUSED_PAD src0_sel:WORD_1 src1_sel:DWORD
	v_mul_f16_sdwa v106, v3, v110 dst_sel:DWORD dst_unused:UNUSED_PAD src0_sel:WORD_1 src1_sel:DWORD
	v_lshrrev_b32_e32 v113, 16, v44
	v_lshrrev_b32_e32 v114, 16, v42
	v_fmac_f16_e32 v104, v1, v52
	v_fma_f16 v52, v1, v108, -v105
	v_mul_f16_sdwa v105, v2, v50 dst_sel:DWORD dst_unused:UNUSED_PAD src0_sel:WORD_1 src1_sel:DWORD
	v_fmac_f16_e32 v83, v2, v50
	v_mul_f16_sdwa v50, v3, v48 dst_sel:DWORD dst_unused:UNUSED_PAD src0_sel:WORD_1 src1_sel:DWORD
	v_mul_f16_sdwa v108, v4, v111 dst_sel:DWORD dst_unused:UNUSED_PAD src0_sel:WORD_1 src1_sel:DWORD
	v_fmac_f16_e32 v106, v3, v48
	v_mul_f16_sdwa v48, v4, v46 dst_sel:DWORD dst_unused:UNUSED_PAD src0_sel:WORD_1 src1_sel:DWORD
	v_lshrrev_b32_e32 v116, 16, v40
	v_fma_f16 v105, v2, v109, -v105
	v_fma_f16 v50, v3, v110, -v50
	v_fmac_f16_e32 v108, v4, v46
	v_mul_f16_sdwa v46, v17, v113 dst_sel:DWORD dst_unused:UNUSED_PAD src0_sel:WORD_1 src1_sel:DWORD
	v_mul_f16_sdwa v109, v17, v44 dst_sel:DWORD dst_unused:UNUSED_PAD src0_sel:WORD_1 src1_sel:DWORD
	v_fma_f16 v48, v4, v111, -v48
	v_mul_f16_sdwa v110, v18, v114 dst_sel:DWORD dst_unused:UNUSED_PAD src0_sel:WORD_1 src1_sel:DWORD
	v_mul_f16_sdwa v111, v18, v42 dst_sel:DWORD dst_unused:UNUSED_PAD src0_sel:WORD_1 src1_sel:DWORD
	v_fmac_f16_e32 v46, v17, v44
	v_fma_f16 v44, v17, v113, -v109
	v_mul_f16_sdwa v109, v19, v116 dst_sel:DWORD dst_unused:UNUSED_PAD src0_sel:WORD_1 src1_sel:DWORD
	v_fmac_f16_e32 v110, v18, v42
	v_fma_f16 v42, v18, v114, -v111
	v_mul_f16_sdwa v113, v1, v103 dst_sel:DWORD dst_unused:UNUSED_PAD src0_sel:WORD_1 src1_sel:DWORD
	v_mul_f16_sdwa v114, v2, v102 dst_sel:DWORD dst_unused:UNUSED_PAD src0_sel:WORD_1 src1_sel:DWORD
	;; [unrolled: 1-line block ×3, first 2 shown]
	v_fmac_f16_e32 v109, v19, v40
	v_mul_f16_sdwa v40, v1, v34 dst_sel:DWORD dst_unused:UNUSED_PAD src0_sel:WORD_1 src1_sel:DWORD
	v_fmac_f16_e32 v113, v1, v34
	v_mul_f16_sdwa v34, v2, v37 dst_sel:DWORD dst_unused:UNUSED_PAD src0_sel:WORD_1 src1_sel:DWORD
	;; [unrolled: 2-line block ×3, first 2 shown]
	v_fma_f16 v1, v1, v103, -v40
	v_mul_f16_sdwa v40, v3, v38 dst_sel:DWORD dst_unused:UNUSED_PAD src0_sel:WORD_1 src1_sel:DWORD
	v_fma_f16 v2, v2, v102, -v34
	v_mul_f16_sdwa v34, v4, v96 dst_sel:DWORD dst_unused:UNUSED_PAD src0_sel:WORD_1 src1_sel:DWORD
	v_fmac_f16_e32 v37, v3, v38
	v_mul_f16_sdwa v38, v17, v95 dst_sel:DWORD dst_unused:UNUSED_PAD src0_sel:WORD_1 src1_sel:DWORD
	v_lshrrev_b32_e32 v77, 16, v35
	v_mul_f16_sdwa v102, v4, v31 dst_sel:DWORD dst_unused:UNUSED_PAD src0_sel:WORD_1 src1_sel:DWORD
	v_fma_f16 v3, v3, v101, -v40
	v_fmac_f16_e32 v34, v4, v31
	v_mul_f16_sdwa v31, v17, v32 dst_sel:DWORD dst_unused:UNUSED_PAD src0_sel:WORD_1 src1_sel:DWORD
	v_mul_f16_sdwa v40, v18, v94 dst_sel:DWORD dst_unused:UNUSED_PAD src0_sel:WORD_1 src1_sel:DWORD
	v_fmac_f16_e32 v38, v17, v32
	v_mul_f16_sdwa v32, v18, v29 dst_sel:DWORD dst_unused:UNUSED_PAD src0_sel:WORD_1 src1_sel:DWORD
	v_sub_f16_e32 v43, v49, v43
	v_fma_f16 v17, v17, v95, -v31
	v_fmac_f16_e32 v40, v18, v29
	v_sub_f16_e32 v29, v35, v81
	v_fma_f16 v18, v18, v94, -v32
	v_sub_f16_e32 v31, v77, v82
	v_sub_f16_e32 v32, v51, v118
	;; [unrolled: 1-line block ×6, first 2 shown]
	v_fma_f16 v51, v51, 2.0, -v32
	v_fma_f16 v49, v49, 2.0, -v43
	v_add_f16_e32 v43, v29, v43
	v_fma_f16 v94, v115, 2.0, -v41
	v_fma_f16 v47, v47, 2.0, -v39
	v_sub_f16_e32 v32, v31, v32
	v_add_f16_e32 v39, v81, v39
	v_sub_f16_e32 v41, v45, v41
	v_fma_f16 v35, v35, 2.0, -v29
	v_fma_f16 v77, v77, 2.0, -v31
	;; [unrolled: 1-line block ×8, first 2 shown]
	v_fma_f16 v4, v4, v96, -v102
	v_mul_f16_sdwa v96, v19, v93 dst_sel:DWORD dst_unused:UNUSED_PAD src0_sel:WORD_1 src1_sel:DWORD
	v_fmamk_f16 v95, v81, 0xb9a8, v29
	v_fmamk_f16 v102, v39, 0x39a8, v43
	;; [unrolled: 1-line block ×3, first 2 shown]
	v_lshrrev_b32_e32 v107, 16, v36
	v_fma_f16 v111, v19, v116, -v111
	v_fmac_f16_e32 v96, v19, v30
	v_sub_f16_e32 v49, v77, v49
	v_sub_f16_e32 v94, v82, v94
	v_mul_f16_sdwa v30, v19, v30 dst_sel:DWORD dst_unused:UNUSED_PAD src0_sel:WORD_1 src1_sel:DWORD
	v_fmac_f16_e32 v95, 0x39a8, v45
	v_fmac_f16_e32 v101, 0xb9a8, v81
	v_fmamk_f16 v103, v41, 0x39a8, v32
	v_fmac_f16_e32 v102, 0x39a8, v41
	v_sub_f16_e32 v41, v104, v46
	v_fma_f16 v82, v82, 2.0, -v94
	v_fma_f16 v19, v19, v93, -v30
	v_fma_f16 v81, v29, 2.0, -v95
	v_sub_f16_e32 v93, v49, v94
	v_fma_f16 v94, v31, 2.0, -v101
	v_sub_f16_e32 v29, v36, v108
	v_fmac_f16_e32 v103, 0xb9a8, v39
	v_sub_f16_e32 v30, v107, v48
	v_sub_f16_e32 v31, v83, v110
	;; [unrolled: 1-line block ×4, first 2 shown]
	v_fma_f16 v48, v104, 2.0, -v41
	v_sub_f16_e32 v104, v50, v111
	v_fma_f16 v42, v107, 2.0, -v30
	v_fma_f16 v45, v83, 2.0, -v31
	;; [unrolled: 1-line block ×3, first 2 shown]
	v_sub_f16_e32 v83, v106, v109
	v_fma_f16 v52, v52, 2.0, -v44
	v_fma_f16 v50, v50, 2.0, -v104
	v_add_f16_e32 v39, v29, v39
	v_add_f16_e32 v104, v41, v104
	v_fma_f16 v36, v36, 2.0, -v29
	v_sub_f16_e32 v46, v42, v46
	v_fma_f16 v105, v106, 2.0, -v83
	v_sub_f16_e32 v31, v30, v31
	;; [unrolled: 2-line block ×3, first 2 shown]
	v_sub_f16_e32 v50, v52, v50
	v_fma_f16 v41, v41, 2.0, -v104
	v_fma_f16 v42, v42, 2.0, -v46
	;; [unrolled: 1-line block ×5, first 2 shown]
	v_fmamk_f16 v106, v41, 0xb9a8, v29
	v_sub_f16_e32 v45, v36, v45
	v_sub_f16_e32 v4, v100, v4
	v_fmamk_f16 v108, v44, 0xb9a8, v30
	v_sub_f16_e32 v52, v42, v52
	v_fmac_f16_e32 v106, 0x39a8, v44
	v_sub_f16_e32 v18, v2, v18
	v_fma_f16 v107, v43, 2.0, -v102
	v_fmac_f16_e32 v108, 0xb9a8, v41
	v_fma_f16 v41, v42, 2.0, -v52
	v_fma_f16 v42, v29, 2.0, -v106
	v_sub_f16_e32 v29, v33, v34
	v_fma_f16 v109, v32, 2.0, -v103
	v_add_f16_e32 v50, v45, v50
	v_fma_f16 v110, v30, 2.0, -v108
	v_fmamk_f16 v111, v104, 0x39a8, v39
	v_fma_f16 v30, v33, 2.0, -v29
	v_sub_f16_e32 v32, v114, v40
	v_sub_f16_e32 v33, v113, v38
	v_fma_f16 v34, v100, 2.0, -v4
	v_sub_f16_e32 v17, v1, v17
	v_fma_f16 v2, v2, 2.0, -v18
	v_sub_f16_e32 v43, v37, v96
	v_sub_f16_e32 v19, v3, v19
	v_sub_f16_e32 v51, v35, v51
	v_sub_f16_e32 v47, v79, v47
	v_fma_f16 v36, v36, 2.0, -v45
	v_fmamk_f16 v112, v83, 0x39a8, v31
	v_fma_f16 v115, v45, 2.0, -v50
	v_fmac_f16_e32 v111, 0x39a8, v83
	v_fma_f16 v38, v114, 2.0, -v32
	v_fma_f16 v40, v113, 2.0, -v33
	;; [unrolled: 1-line block ×3, first 2 shown]
	v_sub_f16_e32 v45, v34, v2
	v_fma_f16 v2, v37, 2.0, -v43
	v_fma_f16 v3, v3, 2.0, -v19
	v_sub_f16_e32 v83, v4, v32
	v_sub_f16_e32 v43, v17, v43
	v_fma_f16 v35, v35, 2.0, -v51
	v_fma_f16 v77, v77, 2.0, -v49
	;; [unrolled: 1-line block ×3, first 2 shown]
	v_fmac_f16_e32 v112, 0xb9a8, v104
	v_sub_f16_e32 v38, v30, v38
	v_add_f16_e32 v37, v18, v29
	v_sub_f16_e32 v100, v40, v2
	v_add_f16_e32 v104, v19, v33
	v_sub_f16_e32 v3, v1, v3
	v_fma_f16 v4, v4, 2.0, -v83
	v_fma_f16 v19, v17, 2.0, -v43
	v_sub_f16_e32 v105, v48, v105
	v_sub_f16_e32 v82, v35, v82
	v_sub_f16_e32 v79, v77, v79
	v_fma_f16 v44, v30, 2.0, -v38
	v_fma_f16 v34, v34, 2.0, -v45
	;; [unrolled: 1-line block ×6, first 2 shown]
	v_fmamk_f16 v30, v19, 0xb9a8, v4
	v_fma_f16 v40, v31, 2.0, -v112
	v_fmamk_f16 v31, v104, 0x39a8, v37
	v_add_f16_e32 v47, v51, v47
	v_fma_f16 v48, v48, 2.0, -v105
	v_fma_f16 v35, v35, 2.0, -v82
	;; [unrolled: 1-line block ×3, first 2 shown]
	v_sub_f16_e32 v17, v44, v2
	v_fmamk_f16 v18, v32, 0xb9a8, v96
	v_sub_f16_e32 v29, v34, v1
	v_fmac_f16_e32 v30, 0xb9a8, v32
	v_fmamk_f16 v32, v43, 0x39a8, v83
	v_fmac_f16_e32 v31, 0x39a8, v43
	v_fma_f16 v51, v51, 2.0, -v47
	v_fma_f16 v49, v49, 2.0, -v93
	v_sub_f16_e32 v48, v36, v48
	v_add_f16_e32 v33, v38, v3
	v_sub_f16_e32 v105, v46, v105
	v_fma_f16 v1, v44, 2.0, -v17
	v_fmac_f16_e32 v18, 0x39a8, v19
	v_fma_f16 v19, v34, 2.0, -v29
	v_sub_f16_e32 v34, v45, v100
	v_fmac_f16_e32 v32, 0xb9a8, v104
	v_fma_f16 v44, v4, 2.0, -v30
	v_fma_f16 v4, v37, 2.0, -v31
	v_pack_b32_f16 v35, v35, v77
	v_pack_b32_f16 v37, v81, v94
	v_fma_f16 v36, v36, 2.0, -v48
	v_fma_f16 v3, v38, 2.0, -v33
	v_pack_b32_f16 v38, v51, v49
	v_pack_b32_f16 v49, v107, v109
	;; [unrolled: 4-line block ×3, first 2 shown]
	v_fma_f16 v2, v96, 2.0, -v18
	v_fma_f16 v45, v45, 2.0, -v34
	;; [unrolled: 1-line block ×3, first 2 shown]
	s_barrier
	buffer_gl0_inv
	ds_write2_b32 v78, v35, v37 offset1:4
	ds_write2_b32 v78, v38, v49 offset0:8 offset1:12
	ds_write2_b32 v78, v51, v77 offset0:16 offset1:20
	v_pack_b32_f16 v35, v47, v93
	v_pack_b32_f16 v37, v102, v103
	;; [unrolled: 1-line block ×10, first 2 shown]
	ds_write2_b32 v78, v35, v37 offset0:24 offset1:28
	ds_write2_b32 v76, v36, v38 offset1:4
	ds_write2_b32 v76, v41, v39 offset0:8 offset1:12
	ds_write2_b32 v76, v40, v42 offset0:16 offset1:20
	;; [unrolled: 1-line block ×3, first 2 shown]
	s_and_saveexec_b32 s1, s0
	s_cbranch_execz .LBB0_29
; %bb.28:
	v_and_or_b32 v35, 0x2fe0, v75, v74
	v_perm_b32 v36, v19, v1, 0x5040100
	v_perm_b32 v37, v44, v2, 0x5040100
	;; [unrolled: 1-line block ×4, first 2 shown]
	v_lshlrev_b32_e32 v35, 2, v35
	v_perm_b32 v17, v29, v17, 0x5040100
	v_perm_b32 v18, v30, v18, 0x5040100
	;; [unrolled: 1-line block ×4, first 2 shown]
	ds_write2_b32 v35, v36, v37 offset1:4
	ds_write2_b32 v35, v38, v39 offset0:8 offset1:12
	ds_write2_b32 v35, v17, v18 offset0:16 offset1:20
	;; [unrolled: 1-line block ×3, first 2 shown]
.LBB0_29:
	s_or_b32 exec_lo, exec_lo, s1
	s_waitcnt lgkmcnt(0)
	s_barrier
	buffer_gl0_inv
	ds_read2st64_b32 v[29:30], v53 offset1:8
	ds_read2st64_b32 v[41:42], v53 offset0:36 offset1:44
	ds_read2st64_b32 v[37:38], v53 offset0:72 offset1:80
	;; [unrolled: 1-line block ×7, first 2 shown]
	s_and_saveexec_b32 s0, vcc_lo
	s_cbranch_execz .LBB0_31
; %bb.30:
	ds_read2st64_b32 v[1:2], v53 offset0:32 offset1:68
	ds_read2st64_b32 v[3:4], v53 offset0:104 offset1:140
	s_waitcnt lgkmcnt(1)
	v_lshrrev_b32_e32 v19, 16, v1
	v_lshrrev_b32_e32 v44, 16, v2
	s_waitcnt lgkmcnt(0)
	v_lshrrev_b32_e32 v45, 16, v3
	v_lshrrev_b32_e32 v43, 16, v4
.LBB0_31:
	s_or_b32 exec_lo, exec_lo, s0
	s_waitcnt lgkmcnt(6)
	v_lshrrev_b32_e32 v47, 16, v41
	s_waitcnt lgkmcnt(5)
	v_lshrrev_b32_e32 v48, 16, v37
	;; [unrolled: 2-line block ×3, first 2 shown]
	v_lshrrev_b32_e32 v51, 16, v42
	v_mul_f16_sdwa v83, v23, v41 dst_sel:DWORD dst_unused:UNUSED_PAD src0_sel:WORD_1 src1_sel:DWORD
	v_mul_f16_sdwa v82, v23, v47 dst_sel:DWORD dst_unused:UNUSED_PAD src0_sel:WORD_1 src1_sel:DWORD
	;; [unrolled: 1-line block ×3, first 2 shown]
	v_lshrrev_b32_e32 v52, 16, v38
	v_lshrrev_b32_e32 v74, 16, v40
	s_waitcnt lgkmcnt(2)
	v_lshrrev_b32_e32 v76, 16, v31
	v_fmac_f16_e32 v82, v23, v41
	v_fma_f16 v41, v23, v47, -v83
	v_fmac_f16_e32 v93, v24, v37
	v_mul_f16_sdwa v37, v24, v37 dst_sel:DWORD dst_unused:UNUSED_PAD src0_sel:WORD_1 src1_sel:DWORD
	v_mul_f16_sdwa v47, v25, v49 dst_sel:DWORD dst_unused:UNUSED_PAD src0_sel:WORD_1 src1_sel:DWORD
	;; [unrolled: 1-line block ×5, first 2 shown]
	s_waitcnt lgkmcnt(1)
	v_lshrrev_b32_e32 v77, 16, v35
	s_waitcnt lgkmcnt(0)
	v_lshrrev_b32_e32 v78, 16, v33
	v_fma_f16 v37, v24, v48, -v37
	v_fmac_f16_e32 v47, v25, v39
	v_fma_f16 v39, v25, v49, -v83
	v_fmac_f16_e32 v96, v23, v42
	v_fma_f16 v42, v23, v51, -v100
	v_mul_f16_sdwa v48, v24, v52 dst_sel:DWORD dst_unused:UNUSED_PAD src0_sel:WORD_1 src1_sel:DWORD
	v_mul_f16_sdwa v49, v24, v38 dst_sel:DWORD dst_unused:UNUSED_PAD src0_sel:WORD_1 src1_sel:DWORD
	;; [unrolled: 1-line block ×5, first 2 shown]
	v_lshrrev_b32_e32 v81, 16, v32
	v_lshrrev_b32_e32 v94, 16, v36
	v_fmac_f16_e32 v48, v24, v38
	v_fma_f16 v38, v24, v52, -v49
	v_fmac_f16_e32 v51, v25, v40
	v_fma_f16 v40, v25, v74, -v83
	v_fmac_f16_e32 v100, v23, v31
	v_mul_f16_sdwa v31, v23, v31 dst_sel:DWORD dst_unused:UNUSED_PAD src0_sel:WORD_1 src1_sel:DWORD
	v_mul_f16_sdwa v49, v24, v77 dst_sel:DWORD dst_unused:UNUSED_PAD src0_sel:WORD_1 src1_sel:DWORD
	;; [unrolled: 1-line block ×5, first 2 shown]
	v_lshrrev_b32_e32 v95, 16, v34
	v_fma_f16 v31, v23, v76, -v31
	v_fmac_f16_e32 v49, v24, v35
	v_fma_f16 v35, v24, v77, -v52
	v_fmac_f16_e32 v74, v25, v33
	v_fma_f16 v33, v25, v78, -v83
	v_mul_f16_sdwa v52, v23, v81 dst_sel:DWORD dst_unused:UNUSED_PAD src0_sel:WORD_1 src1_sel:DWORD
	v_mul_f16_sdwa v76, v23, v32 dst_sel:DWORD dst_unused:UNUSED_PAD src0_sel:WORD_1 src1_sel:DWORD
	v_mul_f16_sdwa v77, v24, v94 dst_sel:DWORD dst_unused:UNUSED_PAD src0_sel:WORD_1 src1_sel:DWORD
	v_mul_f16_sdwa v78, v24, v36 dst_sel:DWORD dst_unused:UNUSED_PAD src0_sel:WORD_1 src1_sel:DWORD
	v_lshrrev_b32_e32 v46, 16, v29
	v_lshrrev_b32_e32 v50, 16, v30
	v_mul_f16_sdwa v83, v25, v95 dst_sel:DWORD dst_unused:UNUSED_PAD src0_sel:WORD_1 src1_sel:DWORD
	v_fmac_f16_e32 v52, v23, v32
	v_fma_f16 v32, v23, v81, -v76
	v_fmac_f16_e32 v77, v24, v36
	v_fma_f16 v36, v24, v94, -v78
	v_mul_f16_sdwa v81, v24, v45 dst_sel:DWORD dst_unused:UNUSED_PAD src0_sel:WORD_1 src1_sel:DWORD
	v_mul_f16_sdwa v94, v24, v3 dst_sel:DWORD dst_unused:UNUSED_PAD src0_sel:WORD_1 src1_sel:DWORD
	v_fmac_f16_e32 v83, v25, v34
	v_mul_f16_sdwa v34, v25, v34 dst_sel:DWORD dst_unused:UNUSED_PAD src0_sel:WORD_1 src1_sel:DWORD
	v_sub_f16_e32 v37, v46, v37
	v_fmac_f16_e32 v81, v24, v3
	v_fma_f16 v3, v24, v45, -v94
	v_mul_f16_sdwa v24, v25, v43 dst_sel:DWORD dst_unused:UNUSED_PAD src0_sel:WORD_1 src1_sel:DWORD
	v_mul_f16_sdwa v45, v25, v4 dst_sel:DWORD dst_unused:UNUSED_PAD src0_sel:WORD_1 src1_sel:DWORD
	v_sub_f16_e32 v38, v50, v38
	v_sub_f16_e32 v40, v42, v40
	v_lshrrev_b32_e32 v75, 16, v17
	v_mul_f16_sdwa v76, v23, v44 dst_sel:DWORD dst_unused:UNUSED_PAD src0_sel:WORD_1 src1_sel:DWORD
	v_mul_f16_sdwa v78, v23, v2 dst_sel:DWORD dst_unused:UNUSED_PAD src0_sel:WORD_1 src1_sel:DWORD
	v_fma_f16 v34, v25, v95, -v34
	v_fmac_f16_e32 v24, v25, v4
	v_fma_f16 v4, v25, v43, -v45
	v_fma_f16 v25, v46, 2.0, -v37
	v_sub_f16_e32 v43, v30, v48
	v_fma_f16 v46, v50, 2.0, -v38
	v_fma_f16 v42, v42, 2.0, -v40
	v_fmac_f16_e32 v76, v23, v2
	v_fma_f16 v2, v23, v44, -v78
	v_sub_f16_e32 v23, v29, v93
	v_sub_f16_e32 v44, v82, v47
	;; [unrolled: 1-line block ×5, first 2 shown]
	v_add_f16_e32 v40, v43, v40
	v_sub_f16_e32 v35, v75, v35
	v_lshrrev_b32_e32 v79, 16, v18
	v_fma_f16 v29, v29, 2.0, -v23
	v_fma_f16 v47, v82, 2.0, -v44
	;; [unrolled: 1-line block ×5, first 2 shown]
	v_sub_f16_e32 v50, v37, v44
	v_fma_f16 v51, v46, 2.0, -v42
	v_sub_f16_e32 v44, v17, v49
	v_sub_f16_e32 v46, v100, v74
	;; [unrolled: 1-line block ×4, first 2 shown]
	v_fma_f16 v45, v75, 2.0, -v35
	v_fma_f16 v75, v43, 2.0, -v40
	v_sub_f16_e32 v43, v18, v77
	v_sub_f16_e32 v77, v52, v83
	;; [unrolled: 1-line block ×8, first 2 shown]
	v_add_f16_e32 v39, v23, v39
	v_fma_f16 v31, v31, 2.0, -v33
	v_add_f16_e32 v33, v44, v33
	v_sub_f16_e32 v81, v1, v81
	v_sub_f16_e32 v24, v76, v24
	v_fma_f16 v19, v19, 2.0, -v83
	v_fma_f16 v2, v2, 2.0, -v4
	;; [unrolled: 1-line block ×4, first 2 shown]
	v_sub_f16_e32 v48, v30, v48
	v_fma_f16 v18, v18, 2.0, -v43
	v_fma_f16 v52, v52, 2.0, -v77
	v_sub_f16_e32 v78, v35, v46
	v_fma_f16 v46, v79, 2.0, -v36
	v_fma_f16 v32, v32, 2.0, -v34
	;; [unrolled: 1-line block ×6, first 2 shown]
	v_sub_f16_e32 v31, v45, v31
	v_fma_f16 v82, v44, 2.0, -v33
	v_add_f16_e32 v34, v43, v34
	v_fma_f16 v1, v1, 2.0, -v81
	v_fma_f16 v3, v76, 2.0, -v24
	v_sub_f16_e32 v44, v19, v2
	v_sub_f16_e32 v49, v17, v49
	v_fma_f16 v30, v30, 2.0, -v48
	v_fma_f16 v38, v38, 2.0, -v74
	v_sub_f16_e32 v77, v36, v77
	v_sub_f16_e32 v52, v18, v52
	;; [unrolled: 1-line block ×3, first 2 shown]
	v_fma_f16 v79, v45, 2.0, -v31
	v_fma_f16 v93, v43, 2.0, -v34
	v_sub_f16_e32 v3, v1, v3
	v_add_f16_e32 v4, v81, v4
	v_sub_f16_e32 v45, v83, v24
	v_fma_f16 v43, v19, 2.0, -v44
	v_pack_b32_f16 v19, v29, v25
	v_pack_b32_f16 v23, v23, v37
	v_fma_f16 v17, v17, 2.0, -v49
	v_fma_f16 v35, v35, 2.0, -v78
	v_pack_b32_f16 v25, v47, v41
	v_pack_b32_f16 v29, v39, v50
	v_fma_f16 v24, v36, 2.0, -v77
	v_pack_b32_f16 v30, v30, v51
	v_pack_b32_f16 v36, v75, v38
	v_fma_f16 v18, v18, 2.0, -v52
	v_fma_f16 v76, v46, 2.0, -v32
	;; [unrolled: 1-line block ×5, first 2 shown]
	s_barrier
	buffer_gl0_inv
	ds_write2_b32 v88, v19, v23 offset1:32
	ds_write2_b32 v88, v25, v29 offset0:64 offset1:96
	ds_write2_b32 v87, v30, v36 offset1:32
	v_pack_b32_f16 v19, v48, v42
	v_pack_b32_f16 v23, v40, v74
	;; [unrolled: 1-line block ×10, first 2 shown]
	ds_write2_b32 v87, v19, v23 offset0:64 offset1:96
	ds_write2_b32 v86, v17, v25 offset1:32
	ds_write2_b32 v86, v29, v30 offset0:64 offset1:96
	ds_write2_b32 v85, v18, v24 offset1:32
	ds_write2_b32 v85, v31, v32 offset0:64 offset1:96
	s_and_saveexec_b32 s0, vcc_lo
	s_cbranch_execz .LBB0_33
; %bb.32:
	v_and_or_b32 v17, 0x2780, v56, v80
	v_perm_b32 v18, v43, v1, 0x5040100
	v_perm_b32 v19, v46, v2, 0x5040100
	;; [unrolled: 1-line block ×4, first 2 shown]
	v_lshlrev_b32_e32 v17, 2, v17
	ds_write2_b32 v17, v18, v19 offset1:32
	ds_write2_b32 v17, v23, v24 offset0:64 offset1:96
.LBB0_33:
	s_or_b32 exec_lo, exec_lo, s0
	s_waitcnt lgkmcnt(0)
	s_barrier
	buffer_gl0_inv
	ds_read2st64_b32 v[23:24], v53 offset1:8
	ds_read2st64_b32 v[37:38], v53 offset0:36 offset1:44
	ds_read2st64_b32 v[39:40], v53 offset0:72 offset1:80
	;; [unrolled: 1-line block ×7, first 2 shown]
	s_and_saveexec_b32 s0, vcc_lo
	s_cbranch_execz .LBB0_35
; %bb.34:
	ds_read2st64_b32 v[1:2], v53 offset0:32 offset1:68
	ds_read2st64_b32 v[3:4], v53 offset0:104 offset1:140
	s_waitcnt lgkmcnt(1)
	v_lshrrev_b32_e32 v43, 16, v1
	v_lshrrev_b32_e32 v46, 16, v2
	s_waitcnt lgkmcnt(0)
	v_lshrrev_b32_e32 v44, 16, v3
	v_lshrrev_b32_e32 v45, 16, v4
.LBB0_35:
	s_or_b32 exec_lo, exec_lo, s0
	s_waitcnt lgkmcnt(6)
	v_lshrrev_b32_e32 v48, 16, v37
	s_waitcnt lgkmcnt(5)
	v_lshrrev_b32_e32 v49, 16, v39
	;; [unrolled: 2-line block ×3, first 2 shown]
	v_lshrrev_b32_e32 v52, 16, v38
	v_lshrrev_b32_e32 v74, 16, v40
	v_mul_f16_sdwa v85, v20, v48 dst_sel:DWORD dst_unused:UNUSED_PAD src0_sel:WORD_1 src1_sel:DWORD
	v_mul_f16_sdwa v86, v20, v37 dst_sel:DWORD dst_unused:UNUSED_PAD src0_sel:WORD_1 src1_sel:DWORD
	;; [unrolled: 1-line block ×5, first 2 shown]
	v_lshrrev_b32_e32 v75, 16, v36
	s_waitcnt lgkmcnt(2)
	v_lshrrev_b32_e32 v77, 16, v33
	v_fmac_f16_e32 v85, v20, v37
	v_fma_f16 v37, v20, v48, -v86
	v_fmac_f16_e32 v87, v21, v39
	v_fma_f16 v39, v21, v49, -v88
	v_fmac_f16_e32 v93, v22, v35
	v_mul_f16_sdwa v35, v22, v35 dst_sel:DWORD dst_unused:UNUSED_PAD src0_sel:WORD_1 src1_sel:DWORD
	v_mul_f16_sdwa v48, v20, v52 dst_sel:DWORD dst_unused:UNUSED_PAD src0_sel:WORD_1 src1_sel:DWORD
	;; [unrolled: 1-line block ×5, first 2 shown]
	s_waitcnt lgkmcnt(1)
	v_lshrrev_b32_e32 v78, 16, v31
	s_waitcnt lgkmcnt(0)
	v_lshrrev_b32_e32 v79, 16, v29
	v_fma_f16 v35, v22, v50, -v35
	v_fmac_f16_e32 v48, v20, v38
	v_fma_f16 v38, v20, v52, -v49
	v_fmac_f16_e32 v86, v21, v40
	v_fma_f16 v40, v21, v74, -v88
	v_mul_f16_sdwa v49, v22, v75 dst_sel:DWORD dst_unused:UNUSED_PAD src0_sel:WORD_1 src1_sel:DWORD
	v_mul_f16_sdwa v50, v22, v36 dst_sel:DWORD dst_unused:UNUSED_PAD src0_sel:WORD_1 src1_sel:DWORD
	;; [unrolled: 1-line block ×5, first 2 shown]
	v_lshrrev_b32_e32 v82, 16, v32
	v_fmac_f16_e32 v49, v22, v36
	v_fma_f16 v36, v22, v75, -v50
	v_fmac_f16_e32 v52, v20, v33
	v_fma_f16 v33, v20, v77, -v74
	v_mul_f16_sdwa v50, v22, v79 dst_sel:DWORD dst_unused:UNUSED_PAD src0_sel:WORD_1 src1_sel:DWORD
	v_mul_f16_sdwa v74, v22, v29 dst_sel:DWORD dst_unused:UNUSED_PAD src0_sel:WORD_1 src1_sel:DWORD
	v_lshrrev_b32_e32 v81, 16, v34
	v_fmac_f16_e32 v88, v21, v31
	v_mul_f16_sdwa v31, v21, v31 dst_sel:DWORD dst_unused:UNUSED_PAD src0_sel:WORD_1 src1_sel:DWORD
	v_fmac_f16_e32 v50, v22, v29
	v_fma_f16 v29, v22, v79, -v74
	v_mul_f16_sdwa v74, v21, v82 dst_sel:DWORD dst_unused:UNUSED_PAD src0_sel:WORD_1 src1_sel:DWORD
	v_lshrrev_b32_e32 v83, 16, v30
	v_mul_f16_sdwa v75, v20, v81 dst_sel:DWORD dst_unused:UNUSED_PAD src0_sel:WORD_1 src1_sel:DWORD
	v_mul_f16_sdwa v77, v20, v34 dst_sel:DWORD dst_unused:UNUSED_PAD src0_sel:WORD_1 src1_sel:DWORD
	v_fma_f16 v31, v21, v78, -v31
	v_sub_f16_e32 v78, v85, v93
	v_lshrrev_b32_e32 v47, 16, v23
	v_lshrrev_b32_e32 v51, 16, v24
	v_fmac_f16_e32 v74, v21, v32
	v_mul_f16_sdwa v32, v21, v32 dst_sel:DWORD dst_unused:UNUSED_PAD src0_sel:WORD_1 src1_sel:DWORD
	v_fmac_f16_e32 v75, v20, v34
	v_fma_f16 v34, v20, v81, -v77
	v_fma_f16 v79, v85, 2.0, -v78
	v_mul_f16_sdwa v81, v22, v83 dst_sel:DWORD dst_unused:UNUSED_PAD src0_sel:WORD_1 src1_sel:DWORD
	v_mul_f16_sdwa v85, v22, v30 dst_sel:DWORD dst_unused:UNUSED_PAD src0_sel:WORD_1 src1_sel:DWORD
	v_sub_f16_e32 v77, v23, v87
	v_sub_f16_e32 v39, v47, v39
	;; [unrolled: 1-line block ×3, first 2 shown]
	v_lshrrev_b32_e32 v76, 16, v17
	v_fma_f16 v32, v21, v82, -v32
	v_sub_f16_e32 v82, v24, v86
	v_sub_f16_e32 v49, v48, v49
	;; [unrolled: 1-line block ×4, first 2 shown]
	v_lshrrev_b32_e32 v80, 16, v18
	v_fmac_f16_e32 v81, v22, v30
	v_fma_f16 v30, v22, v83, -v85
	v_fma_f16 v23, v23, 2.0, -v77
	v_fma_f16 v47, v47, 2.0, -v39
	;; [unrolled: 1-line block ×3, first 2 shown]
	v_sub_f16_e32 v83, v17, v88
	v_sub_f16_e32 v50, v52, v50
	;; [unrolled: 1-line block ×4, first 2 shown]
	v_fma_f16 v24, v24, 2.0, -v82
	v_fma_f16 v48, v48, 2.0, -v49
	v_fma_f16 v51, v51, 2.0, -v40
	v_fma_f16 v38, v38, 2.0, -v36
	v_sub_f16_e32 v74, v18, v74
	v_sub_f16_e32 v32, v80, v32
	;; [unrolled: 1-line block ×6, first 2 shown]
	v_add_f16_e32 v35, v77, v35
	v_sub_f16_e32 v78, v39, v78
	v_fma_f16 v17, v17, 2.0, -v83
	v_fma_f16 v52, v52, 2.0, -v50
	;; [unrolled: 1-line block ×4, first 2 shown]
	v_sub_f16_e32 v48, v24, v48
	v_sub_f16_e32 v38, v51, v38
	v_add_f16_e32 v36, v82, v36
	v_sub_f16_e32 v49, v40, v49
	v_fma_f16 v18, v18, 2.0, -v74
	v_fma_f16 v80, v80, 2.0, -v32
	;; [unrolled: 1-line block ×8, first 2 shown]
	v_sub_f16_e32 v52, v17, v52
	v_sub_f16_e32 v33, v76, v33
	v_add_f16_e32 v29, v83, v29
	v_sub_f16_e32 v50, v31, v50
	v_fma_f16 v24, v24, 2.0, -v48
	v_fma_f16 v51, v51, 2.0, -v38
	;; [unrolled: 1-line block ×4, first 2 shown]
	v_sub_f16_e32 v75, v18, v75
	v_sub_f16_e32 v34, v80, v34
	v_add_f16_e32 v30, v74, v30
	v_sub_f16_e32 v81, v32, v81
	v_pack_b32_f16 v23, v23, v47
	v_pack_b32_f16 v39, v77, v39
	v_fma_f16 v17, v17, 2.0, -v52
	v_fma_f16 v76, v76, 2.0, -v33
	;; [unrolled: 1-line block ×4, first 2 shown]
	v_pack_b32_f16 v37, v79, v37
	v_pack_b32_f16 v35, v35, v78
	;; [unrolled: 1-line block ×4, first 2 shown]
	v_fma_f16 v18, v18, 2.0, -v75
	v_fma_f16 v80, v80, 2.0, -v34
	;; [unrolled: 1-line block ×4, first 2 shown]
	v_or_b32_e32 v41, 0x3800, v53
	v_or_b32_e32 v42, 0x7800, v53
	v_or_b32_e32 v25, 0x2800, v53
	v_or_b32_e32 v19, 0x8800, v53
	s_barrier
	buffer_gl0_inv
	ds_write2st64_b32 v92, v23, v39 offset1:2
	ds_write2st64_b32 v92, v37, v35 offset0:4 offset1:6
	ds_write2st64_b32 v91, v24, v40 offset1:2
	v_pack_b32_f16 v23, v48, v38
	v_pack_b32_f16 v24, v36, v49
	;; [unrolled: 1-line block ×10, first 2 shown]
	ds_write2st64_b32 v91, v23, v24 offset0:4 offset1:6
	ds_write2st64_b32 v90, v17, v31 offset1:2
	ds_write2st64_b32 v90, v33, v29 offset0:4 offset1:6
	ds_write2st64_b32 v89, v18, v32 offset1:2
	ds_write2st64_b32 v89, v34, v30 offset0:4 offset1:6
	s_and_saveexec_b32 s0, vcc_lo
	s_cbranch_execz .LBB0_37
; %bb.36:
	v_mul_f16_sdwa v17, v21, v44 dst_sel:DWORD dst_unused:UNUSED_PAD src0_sel:WORD_1 src1_sel:DWORD
	v_mul_f16_sdwa v18, v20, v2 dst_sel:DWORD dst_unused:UNUSED_PAD src0_sel:WORD_1 src1_sel:DWORD
	;; [unrolled: 1-line block ×5, first 2 shown]
	v_fmac_f16_e32 v17, v21, v3
	v_mul_f16_sdwa v3, v22, v4 dst_sel:DWORD dst_unused:UNUSED_PAD src0_sel:WORD_1 src1_sel:DWORD
	v_fma_f16 v18, v20, v46, -v18
	v_fmac_f16_e32 v24, v20, v2
	v_fmac_f16_e32 v29, v22, v4
	v_fma_f16 v2, v21, v44, -v23
	v_fma_f16 v3, v22, v45, -v3
	v_sub_f16_e32 v4, v1, v17
	v_and_or_b32 v22, 0x2600, v56, v84
	v_sub_f16_e32 v17, v24, v29
	v_sub_f16_e32 v2, v43, v2
	;; [unrolled: 1-line block ×3, first 2 shown]
	v_fma_f16 v1, v1, 2.0, -v4
	v_lshlrev_b32_e32 v22, 2, v22
	v_fma_f16 v20, v24, 2.0, -v17
	v_fma_f16 v21, v43, 2.0, -v2
	;; [unrolled: 1-line block ×3, first 2 shown]
	v_add_f16_e32 v3, v4, v3
	v_sub_f16_e32 v17, v2, v17
	v_sub_f16_e32 v20, v1, v20
	;; [unrolled: 1-line block ×3, first 2 shown]
	v_fma_f16 v4, v4, 2.0, -v3
	v_fma_f16 v2, v2, 2.0, -v17
	;; [unrolled: 1-line block ×3, first 2 shown]
	v_pack_b32_f16 v3, v3, v17
	v_fma_f16 v21, v21, 2.0, -v18
	v_pack_b32_f16 v2, v4, v2
	v_pack_b32_f16 v4, v20, v18
	;; [unrolled: 1-line block ×3, first 2 shown]
	ds_write2st64_b32 v22, v1, v2 offset1:2
	ds_write2st64_b32 v22, v4, v3 offset0:4 offset1:6
.LBB0_37:
	s_or_b32 exec_lo, exec_lo, s0
	s_waitcnt lgkmcnt(0)
	s_barrier
	buffer_gl0_inv
	ds_read2st64_b32 v[1:2], v53 offset1:8
	ds_read2st64_b32 v[3:4], v53 offset0:32 offset1:48
	ds_read2st64_b32 v[17:18], v53 offset0:96 offset1:104
	ds_read_b32 v24, v41
	ds_read2st64_b32 v[20:21], v53 offset0:16 offset1:24
	ds_read2st64_b32 v[22:23], v53 offset0:64 offset1:72
	;; [unrolled: 1-line block ×3, first 2 shown]
	ds_read_b32 v33, v42
	ds_read2st64_b32 v[31:32], v53 offset0:80 offset1:88
	ds_read_b32 v34, v25
	ds_read_b32 v35, v19
	s_waitcnt lgkmcnt(0)
	s_barrier
	buffer_gl0_inv
	s_mov_b32 s4, 0x1c71c71c
	s_mov_b32 s5, 0x3f1c71c7
	v_lshrrev_b32_e32 v36, 16, v1
	v_lshrrev_b32_e32 v37, 16, v4
	;; [unrolled: 1-line block ×5, first 2 shown]
	v_mul_f16_sdwa v77, v27, v4 dst_sel:DWORD dst_unused:UNUSED_PAD src0_sel:WORD_1 src1_sel:DWORD
	v_mul_f16_sdwa v75, v27, v37 dst_sel:DWORD dst_unused:UNUSED_PAD src0_sel:WORD_1 src1_sel:DWORD
	;; [unrolled: 1-line block ×3, first 2 shown]
	v_lshrrev_b32_e32 v45, 16, v22
	v_lshrrev_b32_e32 v46, 16, v29
	v_fma_f16 v37, v27, v37, -v77
	v_fmac_f16_e32 v75, v27, v4
	v_mul_f16_sdwa v4, v28, v17 dst_sel:DWORD dst_unused:UNUSED_PAD src0_sel:WORD_1 src1_sel:DWORD
	v_mul_f16_sdwa v77, v27, v40 dst_sel:DWORD dst_unused:UNUSED_PAD src0_sel:WORD_1 src1_sel:DWORD
	v_fmac_f16_e32 v79, v28, v17
	v_mul_f16_sdwa v17, v27, v24 dst_sel:DWORD dst_unused:UNUSED_PAD src0_sel:WORD_1 src1_sel:DWORD
	v_lshrrev_b32_e32 v48, 16, v23
	v_fma_f16 v4, v28, v38, -v4
	v_mul_f16_sdwa v38, v28, v43 dst_sel:DWORD dst_unused:UNUSED_PAD src0_sel:WORD_1 src1_sel:DWORD
	v_fmac_f16_e32 v77, v27, v24
	v_mul_f16_sdwa v24, v28, v18 dst_sel:DWORD dst_unused:UNUSED_PAD src0_sel:WORD_1 src1_sel:DWORD
	v_fma_f16 v17, v27, v40, -v17
	v_mul_f16_sdwa v40, v27, v45 dst_sel:DWORD dst_unused:UNUSED_PAD src0_sel:WORD_1 src1_sel:DWORD
	v_fmac_f16_e32 v38, v28, v18
	v_mul_f16_sdwa v18, v27, v22 dst_sel:DWORD dst_unused:UNUSED_PAD src0_sel:WORD_1 src1_sel:DWORD
	v_lshrrev_b32_e32 v49, 16, v33
	v_fma_f16 v24, v28, v43, -v24
	v_mul_f16_sdwa v43, v28, v46 dst_sel:DWORD dst_unused:UNUSED_PAD src0_sel:WORD_1 src1_sel:DWORD
	v_fmac_f16_e32 v40, v27, v22
	v_mul_f16_sdwa v22, v28, v29 dst_sel:DWORD dst_unused:UNUSED_PAD src0_sel:WORD_1 src1_sel:DWORD
	v_fma_f16 v18, v27, v45, -v18
	v_mul_f16_sdwa v45, v27, v48 dst_sel:DWORD dst_unused:UNUSED_PAD src0_sel:WORD_1 src1_sel:DWORD
	v_lshrrev_b32_e32 v51, 16, v31
	v_lshrrev_b32_e32 v52, 16, v30
	v_fmac_f16_e32 v43, v28, v29
	v_mul_f16_sdwa v29, v27, v23 dst_sel:DWORD dst_unused:UNUSED_PAD src0_sel:WORD_1 src1_sel:DWORD
	v_fma_f16 v22, v28, v46, -v22
	v_mul_f16_sdwa v46, v28, v49 dst_sel:DWORD dst_unused:UNUSED_PAD src0_sel:WORD_1 src1_sel:DWORD
	v_fmac_f16_e32 v45, v27, v23
	v_mul_f16_sdwa v23, v28, v33 dst_sel:DWORD dst_unused:UNUSED_PAD src0_sel:WORD_1 src1_sel:DWORD
	v_lshrrev_b32_e32 v76, 16, v32
	v_fma_f16 v29, v27, v48, -v29
	v_mul_f16_sdwa v48, v27, v51 dst_sel:DWORD dst_unused:UNUSED_PAD src0_sel:WORD_1 src1_sel:DWORD
	v_fmac_f16_e32 v46, v28, v33
	v_mul_f16_sdwa v33, v27, v31 dst_sel:DWORD dst_unused:UNUSED_PAD src0_sel:WORD_1 src1_sel:DWORD
	v_fma_f16 v23, v28, v49, -v23
	v_mul_f16_sdwa v49, v28, v52 dst_sel:DWORD dst_unused:UNUSED_PAD src0_sel:WORD_1 src1_sel:DWORD
	v_lshrrev_b32_e32 v78, 16, v35
	v_fmac_f16_e32 v48, v27, v31
	v_mul_f16_sdwa v31, v28, v30 dst_sel:DWORD dst_unused:UNUSED_PAD src0_sel:WORD_1 src1_sel:DWORD
	v_fma_f16 v33, v27, v51, -v33
	v_mul_f16_sdwa v51, v27, v76 dst_sel:DWORD dst_unused:UNUSED_PAD src0_sel:WORD_1 src1_sel:DWORD
	v_fmac_f16_e32 v49, v28, v30
	v_mul_f16_sdwa v30, v27, v32 dst_sel:DWORD dst_unused:UNUSED_PAD src0_sel:WORD_1 src1_sel:DWORD
	v_fma_f16 v31, v28, v52, -v31
	v_mul_f16_sdwa v52, v28, v78 dst_sel:DWORD dst_unused:UNUSED_PAD src0_sel:WORD_1 src1_sel:DWORD
	v_fmac_f16_e32 v51, v27, v32
	v_mul_f16_sdwa v32, v28, v35 dst_sel:DWORD dst_unused:UNUSED_PAD src0_sel:WORD_1 src1_sel:DWORD
	v_fma_f16 v27, v27, v76, -v30
	v_add_f16_e32 v30, v75, v79
	v_fmac_f16_e32 v52, v28, v35
	v_add_f16_e32 v35, v1, v75
	v_fma_f16 v28, v28, v78, -v32
	v_add_f16_e32 v32, v37, v4
	v_fma_f16 v1, -0.5, v30, v1
	v_sub_f16_e32 v30, v37, v4
	v_lshrrev_b32_e32 v39, 16, v2
	v_add_f16_e32 v37, v36, v37
	v_fmac_f16_e32 v36, -0.5, v32
	v_sub_f16_e32 v32, v75, v79
	v_fmamk_f16 v75, v30, 0xbaee, v1
	v_fmac_f16_e32 v1, 0x3aee, v30
	v_add_f16_e32 v30, v77, v38
	v_add_f16_e32 v4, v37, v4
	v_fmamk_f16 v37, v32, 0x3aee, v36
	v_add_f16_e32 v76, v2, v77
	v_fmac_f16_e32 v36, 0xbaee, v32
	v_add_f16_e32 v32, v17, v24
	v_fmac_f16_e32 v2, -0.5, v30
	v_sub_f16_e32 v30, v17, v24
	v_add_f16_e32 v17, v39, v17
	v_lshrrev_b32_e32 v44, 16, v20
	v_fmac_f16_e32 v39, -0.5, v32
	v_sub_f16_e32 v32, v77, v38
	v_add_f16_e32 v76, v76, v38
	v_add_f16_e32 v17, v17, v24
	;; [unrolled: 1-line block ×3, first 2 shown]
	v_fmamk_f16 v38, v30, 0xbaee, v2
	v_fmac_f16_e32 v2, 0x3aee, v30
	v_fmamk_f16 v30, v32, 0x3aee, v39
	v_add_f16_e32 v77, v20, v40
	v_fmac_f16_e32 v39, 0xbaee, v32
	v_add_f16_e32 v32, v18, v22
	v_fma_f16 v20, -0.5, v24, v20
	v_sub_f16_e32 v24, v18, v22
	v_add_f16_e32 v18, v44, v18
	v_lshrrev_b32_e32 v47, 16, v21
	v_fmac_f16_e32 v44, -0.5, v32
	v_sub_f16_e32 v32, v40, v43
	v_add_f16_e32 v77, v77, v43
	v_add_f16_e32 v18, v18, v22
	;; [unrolled: 1-line block ×3, first 2 shown]
	v_fmamk_f16 v40, v24, 0xbaee, v20
	v_fmac_f16_e32 v20, 0x3aee, v24
	v_fmamk_f16 v24, v32, 0x3aee, v44
	v_add_f16_e32 v43, v21, v45
	v_fmac_f16_e32 v44, 0xbaee, v32
	v_add_f16_e32 v32, v29, v23
	v_fmac_f16_e32 v21, -0.5, v22
	v_sub_f16_e32 v22, v29, v23
	v_add_f16_e32 v29, v47, v29
	v_lshrrev_b32_e32 v50, 16, v3
	v_fmac_f16_e32 v47, -0.5, v32
	v_sub_f16_e32 v32, v45, v46
	v_fmamk_f16 v45, v22, 0xbaee, v21
	v_fmac_f16_e32 v21, 0x3aee, v22
	v_add_f16_e32 v22, v29, v23
	v_add_f16_e32 v23, v48, v49
	;; [unrolled: 1-line block ×3, first 2 shown]
	v_fmamk_f16 v29, v32, 0x3aee, v47
	v_add_f16_e32 v46, v3, v48
	v_fmac_f16_e32 v47, 0xbaee, v32
	v_add_f16_e32 v32, v33, v31
	v_fmac_f16_e32 v3, -0.5, v23
	v_sub_f16_e32 v23, v33, v31
	v_add_f16_e32 v33, v50, v33
	v_lshrrev_b32_e32 v74, 16, v34
	v_fmac_f16_e32 v50, -0.5, v32
	v_sub_f16_e32 v32, v48, v49
	v_fmamk_f16 v48, v23, 0xbaee, v3
	v_fmac_f16_e32 v3, 0x3aee, v23
	v_add_f16_e32 v23, v33, v31
	v_add_f16_e32 v31, v51, v52
	;; [unrolled: 1-line block ×4, first 2 shown]
	v_fmamk_f16 v33, v32, 0x3aee, v50
	v_fmac_f16_e32 v50, 0xbaee, v32
	v_add_f16_e32 v32, v27, v28
	v_add_f16_e32 v49, v34, v51
	v_fmac_f16_e32 v34, -0.5, v31
	v_sub_f16_e32 v31, v27, v28
	v_add_f16_e32 v27, v74, v27
	v_fmac_f16_e32 v74, -0.5, v32
	v_sub_f16_e32 v32, v51, v52
	v_pack_b32_f16 v4, v35, v4
	v_fmamk_f16 v51, v31, 0xbaee, v34
	v_fmac_f16_e32 v34, 0x3aee, v31
	v_pack_b32_f16 v31, v75, v37
	v_pack_b32_f16 v1, v1, v36
	;; [unrolled: 1-line block ×3, first 2 shown]
	v_add_f16_e32 v49, v49, v52
	v_add_f16_e32 v27, v27, v28
	ds_write2st64_b32 v53, v4, v31 offset1:8
	v_pack_b32_f16 v4, v76, v17
	v_pack_b32_f16 v17, v38, v30
	;; [unrolled: 1-line block ×3, first 2 shown]
	v_fmamk_f16 v28, v32, 0x3aee, v74
	v_pack_b32_f16 v24, v40, v24
	v_fmac_f16_e32 v74, 0xbaee, v32
	v_pack_b32_f16 v20, v20, v44
	v_pack_b32_f16 v22, v43, v22
	ds_write2st64_b32 v53, v1, v4 offset0:16 offset1:24
	ds_write_b32 v25, v2
	ds_write2st64_b32 v53, v17, v18 offset0:32 offset1:48
	ds_write_b32 v41, v24
	ds_write2st64_b32 v53, v20, v22 offset0:64 offset1:72
	v_pack_b32_f16 v1, v45, v29
	v_pack_b32_f16 v2, v21, v47
	;; [unrolled: 1-line block ×8, first 2 shown]
	ds_write2st64_b32 v53, v1, v2 offset0:80 offset1:88
	ds_write2st64_b32 v53, v4, v17 offset0:96 offset1:104
	ds_write_b32 v42, v18
	ds_write2st64_b32 v53, v3, v20 offset0:112 offset1:128
	ds_write_b32 v19, v21
	s_waitcnt lgkmcnt(0)
	s_barrier
	buffer_gl0_inv
	ds_read2st64_b32 v[1:2], v53 offset1:8
	ds_read2st64_b32 v[3:4], v53 offset0:16 offset1:24
	ds_read2st64_b32 v[17:18], v53 offset0:32 offset1:48
	;; [unrolled: 1-line block ×4, first 2 shown]
	ds_read_b32 v24, v42
	ds_read_b32 v31, v25
	;; [unrolled: 1-line block ×4, first 2 shown]
	ds_read2st64_b32 v[27:28], v53 offset0:80 offset1:88
	ds_read2st64_b32 v[29:30], v53 offset0:112 offset1:128
	s_waitcnt lgkmcnt(10)
	v_lshrrev_b32_e32 v34, 16, v1
	s_waitcnt lgkmcnt(9)
	v_lshrrev_b32_e32 v35, 16, v4
	;; [unrolled: 2-line block ×4, first 2 shown]
	v_mul_f16_sdwa v75, v9, v4 dst_sel:DWORD dst_unused:UNUSED_PAD src0_sel:WORD_1 src1_sel:DWORD
	s_waitcnt lgkmcnt(6)
	v_lshrrev_b32_e32 v38, 16, v22
	v_mul_f16_sdwa v52, v9, v35 dst_sel:DWORD dst_unused:UNUSED_PAD src0_sel:WORD_1 src1_sel:DWORD
	v_mul_f16_sdwa v77, v10, v36 dst_sel:DWORD dst_unused:UNUSED_PAD src0_sel:WORD_1 src1_sel:DWORD
	s_waitcnt lgkmcnt(5)
	v_lshrrev_b32_e32 v39, 16, v24
	v_lshrrev_b32_e32 v43, 16, v17
	s_waitcnt lgkmcnt(2)
	v_lshrrev_b32_e32 v44, 16, v33
	v_fmac_f16_e32 v52, v9, v4
	v_mul_f16_sdwa v4, v10, v18 dst_sel:DWORD dst_unused:UNUSED_PAD src0_sel:WORD_1 src1_sel:DWORD
	v_fma_f16 v9, v9, v35, -v75
	v_mul_f16_sdwa v35, v11, v37 dst_sel:DWORD dst_unused:UNUSED_PAD src0_sel:WORD_1 src1_sel:DWORD
	v_fmac_f16_e32 v77, v10, v18
	v_mul_f16_sdwa v18, v11, v21 dst_sel:DWORD dst_unused:UNUSED_PAD src0_sel:WORD_1 src1_sel:DWORD
	v_fma_f16 v4, v10, v36, -v4
	v_mul_f16_sdwa v10, v12, v38 dst_sel:DWORD dst_unused:UNUSED_PAD src0_sel:WORD_1 src1_sel:DWORD
	;; [unrolled: 4-line block ×3, first 2 shown]
	s_waitcnt lgkmcnt(1)
	v_lshrrev_b32_e32 v45, 16, v27
	v_fmac_f16_e32 v10, v12, v22
	v_mul_f16_sdwa v22, v99, v24 dst_sel:DWORD dst_unused:UNUSED_PAD src0_sel:WORD_1 src1_sel:DWORD
	v_fma_f16 v12, v12, v38, -v21
	v_mul_f16_sdwa v21, v13, v43 dst_sel:DWORD dst_unused:UNUSED_PAD src0_sel:WORD_1 src1_sel:DWORD
	v_fmac_f16_e32 v18, v99, v24
	v_mul_f16_sdwa v24, v13, v17 dst_sel:DWORD dst_unused:UNUSED_PAD src0_sel:WORD_1 src1_sel:DWORD
	v_mul_f16_sdwa v36, v14, v44 dst_sel:DWORD dst_unused:UNUSED_PAD src0_sel:WORD_1 src1_sel:DWORD
	v_lshrrev_b32_e32 v46, 16, v23
	s_waitcnt lgkmcnt(0)
	v_lshrrev_b32_e32 v47, 16, v30
	v_fmac_f16_e32 v21, v13, v17
	v_mul_f16_sdwa v17, v14, v33 dst_sel:DWORD dst_unused:UNUSED_PAD src0_sel:WORD_1 src1_sel:DWORD
	v_fma_f16 v13, v13, v43, -v24
	v_mul_f16_sdwa v24, v15, v45 dst_sel:DWORD dst_unused:UNUSED_PAD src0_sel:WORD_1 src1_sel:DWORD
	v_fmac_f16_e32 v36, v14, v33
	v_mul_f16_sdwa v33, v15, v27 dst_sel:DWORD dst_unused:UNUSED_PAD src0_sel:WORD_1 src1_sel:DWORD
	v_lshrrev_b32_e32 v49, 16, v31
	v_fma_f16 v14, v14, v44, -v17
	v_mul_f16_sdwa v17, v16, v46 dst_sel:DWORD dst_unused:UNUSED_PAD src0_sel:WORD_1 src1_sel:DWORD
	v_fmac_f16_e32 v24, v15, v27
	v_mul_f16_sdwa v27, v16, v23 dst_sel:DWORD dst_unused:UNUSED_PAD src0_sel:WORD_1 src1_sel:DWORD
	v_fma_f16 v15, v15, v45, -v33
	v_mul_f16_sdwa v33, v98, v47 dst_sel:DWORD dst_unused:UNUSED_PAD src0_sel:WORD_1 src1_sel:DWORD
	v_lshrrev_b32_e32 v50, 16, v20
	v_lshrrev_b32_e32 v51, 16, v28
	v_fmac_f16_e32 v17, v16, v23
	v_mul_f16_sdwa v23, v98, v30 dst_sel:DWORD dst_unused:UNUSED_PAD src0_sel:WORD_1 src1_sel:DWORD
	v_fma_f16 v16, v16, v46, -v27
	v_mul_f16_sdwa v27, v5, v49 dst_sel:DWORD dst_unused:UNUSED_PAD src0_sel:WORD_1 src1_sel:DWORD
	v_fmac_f16_e32 v33, v98, v30
	v_mul_f16_sdwa v30, v5, v31 dst_sel:DWORD dst_unused:UNUSED_PAD src0_sel:WORD_1 src1_sel:DWORD
	v_lshrrev_b32_e32 v74, 16, v29
	v_mul_f16_sdwa v37, v6, v50 dst_sel:DWORD dst_unused:UNUSED_PAD src0_sel:WORD_1 src1_sel:DWORD
	v_fmac_f16_e32 v27, v5, v31
	v_mul_f16_sdwa v31, v6, v20 dst_sel:DWORD dst_unused:UNUSED_PAD src0_sel:WORD_1 src1_sel:DWORD
	v_fma_f16 v5, v5, v49, -v30
	v_mul_f16_sdwa v30, v7, v51 dst_sel:DWORD dst_unused:UNUSED_PAD src0_sel:WORD_1 src1_sel:DWORD
	v_lshrrev_b32_e32 v76, 16, v32
	v_fmac_f16_e32 v37, v6, v20
	v_mul_f16_sdwa v20, v7, v28 dst_sel:DWORD dst_unused:UNUSED_PAD src0_sel:WORD_1 src1_sel:DWORD
	v_fma_f16 v6, v6, v50, -v31
	v_mul_f16_sdwa v31, v8, v74 dst_sel:DWORD dst_unused:UNUSED_PAD src0_sel:WORD_1 src1_sel:DWORD
	v_fmac_f16_e32 v30, v7, v28
	v_mul_f16_sdwa v28, v8, v29 dst_sel:DWORD dst_unused:UNUSED_PAD src0_sel:WORD_1 src1_sel:DWORD
	v_fma_f16 v7, v7, v51, -v20
	v_mul_f16_sdwa v20, v97, v76 dst_sel:DWORD dst_unused:UNUSED_PAD src0_sel:WORD_1 src1_sel:DWORD
	v_fmac_f16_e32 v31, v8, v29
	v_fma_f16 v22, v99, v39, -v22
	v_fma_f16 v8, v8, v74, -v28
	v_add_f16_e32 v28, v77, v10
	v_mul_f16_sdwa v29, v97, v32 dst_sel:DWORD dst_unused:UNUSED_PAD src0_sel:WORD_1 src1_sel:DWORD
	v_fmac_f16_e32 v20, v97, v32
	v_add_f16_e32 v32, v1, v77
	v_add_f16_e32 v38, v4, v12
	v_fma_f16 v1, -0.5, v28, v1
	v_sub_f16_e32 v28, v4, v12
	v_add_f16_e32 v4, v34, v4
	v_add_f16_e32 v32, v32, v10
	v_fmac_f16_e32 v34, -0.5, v38
	v_sub_f16_e32 v10, v77, v10
	v_fmamk_f16 v38, v28, 0xbaee, v1
	v_fmac_f16_e32 v1, 0x3aee, v28
	v_add_f16_e32 v28, v11, v22
	v_add_f16_e32 v39, v35, v18
	;; [unrolled: 1-line block ×4, first 2 shown]
	v_fmamk_f16 v12, v10, 0x3aee, v34
	v_fmac_f16_e32 v9, -0.5, v28
	v_sub_f16_e32 v28, v35, v18
	v_add_f16_e32 v35, v52, v35
	v_fmac_f16_e32 v52, -0.5, v39
	v_sub_f16_e32 v11, v11, v22
	v_fmac_f16_e32 v34, 0xbaee, v10
	v_fmamk_f16 v10, v28, 0x3aee, v9
	v_fmac_f16_e32 v9, 0xbaee, v28
	v_add_f16_e32 v22, v43, v22
	v_fmamk_f16 v28, v11, 0xbaee, v52
	v_fmac_f16_e32 v52, 0x3aee, v11
	v_mul_f16_e32 v11, 0xbaee, v10
	v_mul_f16_e32 v10, 0.5, v10
	v_add_f16_e32 v18, v35, v18
	v_add_f16_e32 v44, v4, v22
	v_sub_f16_e32 v4, v4, v22
	v_add_f16_e32 v22, v36, v17
	v_fmac_f16_e32 v10, 0x3aee, v28
	v_lshrrev_b32_e32 v40, 16, v2
	v_fma_f16 v23, v98, v47, -v23
	v_mul_f16_e32 v35, 0xbaee, v9
	v_mul_f16_e32 v9, -0.5, v9
	v_add_f16_e32 v39, v32, v18
	v_add_f16_e32 v45, v12, v10
	v_sub_f16_e32 v18, v32, v18
	v_sub_f16_e32 v10, v12, v10
	v_add_f16_e32 v12, v2, v36
	v_add_f16_e32 v32, v14, v16
	v_fmac_f16_e32 v2, -0.5, v22
	v_sub_f16_e32 v22, v14, v16
	v_fmac_f16_e32 v35, -0.5, v52
	v_fmac_f16_e32 v9, 0x3aee, v52
	v_add_f16_e32 v14, v40, v14
	v_fmac_f16_e32 v40, -0.5, v32
	v_fmamk_f16 v32, v22, 0xbaee, v2
	v_fmac_f16_e32 v2, 0x3aee, v22
	v_add_f16_e32 v22, v15, v23
	v_add_f16_e32 v43, v1, v35
	;; [unrolled: 1-line block ×3, first 2 shown]
	v_sub_f16_e32 v1, v1, v35
	v_sub_f16_e32 v9, v34, v9
	v_add_f16_e32 v12, v12, v17
	v_sub_f16_e32 v17, v36, v17
	v_add_f16_e32 v34, v24, v33
	v_add_f16_e32 v35, v13, v15
	v_fmac_f16_e32 v13, -0.5, v22
	v_sub_f16_e32 v22, v24, v33
	v_add_f16_e32 v14, v14, v16
	v_fmamk_f16 v16, v17, 0x3aee, v40
	v_add_f16_e32 v24, v21, v24
	v_fmac_f16_e32 v21, -0.5, v34
	v_sub_f16_e32 v15, v15, v23
	v_fmac_f16_e32 v40, 0xbaee, v17
	v_fmamk_f16 v17, v22, 0x3aee, v13
	v_fmac_f16_e32 v13, 0xbaee, v22
	v_add_f16_e32 v22, v24, v33
	v_fmamk_f16 v24, v15, 0xbaee, v21
	v_fmac_f16_e32 v21, 0x3aee, v15
	v_mul_f16_e32 v15, 0xbaee, v17
	v_mul_f16_e32 v17, 0.5, v17
	v_add_f16_e32 v23, v35, v23
	v_add_f16_e32 v34, v12, v22
	v_sub_f16_e32 v12, v12, v22
	v_add_f16_e32 v22, v37, v31
	v_fmac_f16_e32 v17, 0x3aee, v24
	v_lshrrev_b32_e32 v48, 16, v3
	v_fma_f16 v29, v97, v76, -v29
	v_mul_f16_e32 v33, 0xbaee, v13
	v_add_f16_e32 v35, v14, v23
	v_add_f16_e32 v36, v16, v17
	v_sub_f16_e32 v14, v14, v23
	v_sub_f16_e32 v16, v16, v17
	v_add_f16_e32 v17, v3, v37
	v_add_f16_e32 v23, v6, v8
	v_fmac_f16_e32 v3, -0.5, v22
	v_sub_f16_e32 v22, v6, v8
	v_mul_f16_e32 v13, -0.5, v13
	v_fmac_f16_e32 v15, 0.5, v24
	v_fmac_f16_e32 v33, -0.5, v21
	v_add_f16_e32 v17, v17, v31
	v_add_f16_e32 v6, v48, v6
	v_fmac_f16_e32 v48, -0.5, v23
	v_sub_f16_e32 v23, v37, v31
	v_fmamk_f16 v31, v22, 0xbaee, v3
	v_fmac_f16_e32 v3, 0x3aee, v22
	v_add_f16_e32 v22, v7, v29
	v_fmac_f16_e32 v13, 0x3aee, v21
	v_add_f16_e32 v21, v32, v15
	v_add_f16_e32 v24, v2, v33
	v_sub_f16_e32 v15, v32, v15
	v_sub_f16_e32 v2, v2, v33
	v_add_f16_e32 v32, v30, v20
	v_add_f16_e32 v33, v5, v7
	v_fmac_f16_e32 v5, -0.5, v22
	v_sub_f16_e32 v22, v30, v20
	v_add_f16_e32 v6, v6, v8
	v_fmamk_f16 v8, v23, 0x3aee, v48
	v_add_f16_e32 v30, v27, v30
	v_fmac_f16_e32 v27, -0.5, v32
	v_sub_f16_e32 v7, v7, v29
	v_fmac_f16_e32 v48, 0xbaee, v23
	v_fmamk_f16 v23, v22, 0x3aee, v5
	v_fmac_f16_e32 v5, 0xbaee, v22
	v_fmac_f16_e32 v11, 0.5, v28
	v_add_f16_e32 v20, v30, v20
	v_fmamk_f16 v22, v7, 0xbaee, v27
	v_fmac_f16_e32 v27, 0x3aee, v7
	v_mul_f16_e32 v7, 0xbaee, v23
	v_mul_f16_e32 v23, 0.5, v23
	v_mul_f16_e32 v30, 0xbaee, v5
	v_mul_f16_e32 v5, -0.5, v5
	v_add_f16_e32 v28, v38, v11
	v_sub_f16_e32 v11, v38, v11
	v_add_f16_e32 v29, v33, v29
	v_fmac_f16_e32 v7, 0.5, v22
	v_add_f16_e32 v32, v17, v20
	v_fmac_f16_e32 v23, 0x3aee, v22
	v_sub_f16_e32 v17, v17, v20
	v_pack_b32_f16 v20, v39, v44
	v_pack_b32_f16 v1, v1, v9
	;; [unrolled: 1-line block ×3, first 2 shown]
	v_fmac_f16_e32 v30, -0.5, v27
	v_fmac_f16_e32 v5, 0x3aee, v27
	v_add_f16_e32 v38, v40, v13
	v_add_f16_e32 v22, v31, v7
	;; [unrolled: 1-line block ×4, first 2 shown]
	v_sub_f16_e32 v8, v8, v23
	v_pack_b32_f16 v23, v28, v45
	v_pack_b32_f16 v28, v43, v46
	;; [unrolled: 1-line block ×4, first 2 shown]
	ds_write2st64_b32 v53, v20, v9 offset1:8
	v_pack_b32_f16 v9, v15, v16
	v_sub_f16_e32 v13, v40, v13
	v_add_f16_e32 v27, v3, v30
	v_add_f16_e32 v40, v48, v5
	v_sub_f16_e32 v6, v6, v29
	ds_write_b32 v42, v1
	v_pack_b32_f16 v1, v24, v38
	v_sub_f16_e32 v7, v31, v7
	v_sub_f16_e32 v3, v3, v30
	;; [unrolled: 1-line block ×3, first 2 shown]
	ds_write2st64_b32 v53, v11, v28 offset0:32 offset1:48
	v_pack_b32_f16 v11, v32, v33
	ds_write2st64_b32 v53, v10, v9 offset0:96 offset1:104
	v_pack_b32_f16 v9, v22, v37
	v_pack_b32_f16 v4, v18, v4
	;; [unrolled: 1-line block ×3, first 2 shown]
	ds_write_b32 v41, v1
	v_pack_b32_f16 v1, v12, v14
	v_pack_b32_f16 v6, v17, v6
	;; [unrolled: 1-line block ×5, first 2 shown]
	ds_write2st64_b32 v53, v11, v23 offset0:16 offset1:24
	ds_write_b32 v25, v9
	ds_write2st64_b32 v53, v10, v4 offset0:64 offset1:72
	ds_write2st64_b32 v53, v1, v6 offset0:80 offset1:88
	;; [unrolled: 1-line block ×3, first 2 shown]
	ds_write_b32 v19, v3
	s_waitcnt lgkmcnt(0)
	s_barrier
	buffer_gl0_inv
	ds_read2st64_b32 v[4:5], v53 offset1:8
	s_waitcnt lgkmcnt(0)
	v_lshrrev_b32_e32 v3, 16, v4
	v_mul_f16_sdwa v1, v72, v3 dst_sel:DWORD dst_unused:UNUSED_PAD src0_sel:WORD_1 src1_sel:DWORD
	v_fmac_f16_e32 v1, v72, v4
	v_mul_f16_sdwa v4, v72, v4 dst_sel:DWORD dst_unused:UNUSED_PAD src0_sel:WORD_1 src1_sel:DWORD
	v_cvt_f32_f16_e32 v1, v1
	v_fma_f16 v3, v72, v3, -v4
	v_cvt_f64_f32_e32 v[1:2], v1
	v_cvt_f32_f16_e32 v3, v3
	v_cvt_f64_f32_e32 v[3:4], v3
	v_mul_f64 v[6:7], v[1:2], s[4:5]
	ds_read2st64_b32 v[1:2], v53 offset0:36 offset1:44
	v_mul_f64 v[8:9], v[3:4], s[4:5]
	s_waitcnt lgkmcnt(0)
	v_lshrrev_b32_e32 v14, 16, v1
	v_and_or_b32 v3, 0x1ff, v7, v6
	v_lshrrev_b32_e32 v4, 8, v7
	v_bfe_u32 v6, v7, 20, 11
	v_mul_f16_sdwa v12, v71, v14 dst_sel:DWORD dst_unused:UNUSED_PAD src0_sel:WORD_1 src1_sel:DWORD
	v_cmp_ne_u32_e64 s0, 0, v3
	v_and_or_b32 v8, 0x1ff, v9, v8
	v_lshrrev_b32_e32 v11, 8, v9
	v_bfe_u32 v15, v9, 20, 11
	v_fmac_f16_e32 v12, v71, v1
	v_cndmask_b32_e64 v3, 0, 1, s0
	v_cmp_ne_u32_e64 s0, 0, v8
	v_add_nc_u32_e32 v16, 0xfffffc10, v6
	v_mul_f16_sdwa v1, v71, v1 dst_sel:DWORD dst_unused:UNUSED_PAD src0_sel:WORD_1 src1_sel:DWORD
	v_and_or_b32 v13, 0xffe, v4, v3
	v_sub_nc_u32_e32 v3, 0x3f1, v6
	v_cndmask_b32_e64 v8, 0, 1, s0
	v_fma_f16 v1, v71, v14, -v1
	v_cmp_eq_u32_e64 s2, 0x40f, v16
	v_or_b32_e32 v4, 0x1000, v13
	v_med3_i32 v3, v3, 0, 13
	v_and_or_b32 v8, 0xffe, v11, v8
	v_sub_nc_u32_e32 v11, 0x3f1, v15
	v_lshl_or_b32 v18, v16, 12, v13
	v_cvt_f32_f16_e32 v1, v1
	v_lshrrev_b32_e32 v10, v3, v4
	v_med3_i32 v6, v11, 0, 13
	v_lshlrev_b32_e32 v3, v3, v10
	v_cmp_ne_u32_e64 s0, v3, v4
	v_cvt_f32_f16_e32 v4, v12
	v_or_b32_e32 v12, 0x1000, v8
	v_cndmask_b32_e64 v3, 0, 1, s0
	v_cmp_gt_i32_e64 s0, 1, v16
	v_lshrrev_b32_e32 v19, v6, v12
	v_or_b32_e32 v17, v10, v3
	v_cvt_f64_f32_e32 v[3:4], v4
	v_mad_u64_u32 v[10:11], null, s14, v26, 0
	v_cndmask_b32_e64 v17, v18, v17, s0
	v_lshlrev_b32_e32 v18, v6, v19
	v_and_b32_e32 v20, 7, v17
	v_cmp_ne_u32_e64 s0, v18, v12
	v_mov_b32_e32 v6, v11
	v_add_nc_u32_e32 v18, 0xfffffc10, v15
	v_lshrrev_b32_e32 v15, 2, v17
	v_cmp_eq_u32_e64 s1, 3, v20
	v_cndmask_b32_e64 v11, 0, 1, s0
	v_cmp_lt_i32_e64 s0, 5, v20
	v_or_b32_e32 v17, v19, v11
	s_or_b32 s0, s1, s0
	v_mul_f64 v[11:12], v[3:4], s[4:5]
	v_add_co_ci_u32_e64 v3, s0, 0, v15, s0
	v_lshl_or_b32 v19, v18, 12, v8
	v_cmp_gt_i32_e64 s0, 1, v18
	v_cndmask_b32_e64 v15, v19, v17, s0
	v_cmp_ne_u32_e64 s0, 0, v13
	v_mad_u64_u32 v[13:14], null, s15, v26, v[6:7]
	v_and_b32_e32 v19, 7, v15
	v_cndmask_b32_e64 v4, 0, 1, s0
	v_cmp_gt_i32_e64 s0, 31, v16
	v_cmp_eq_u32_e64 s1, 3, v19
	v_lshl_or_b32 v20, v4, 9, 0x7c00
	v_cndmask_b32_e64 v17, 0x7c00, v3, s0
	v_cvt_f64_f32_e32 v[3:4], v1
	v_cmp_lt_i32_e64 s0, 5, v19
	v_lshrrev_b32_e32 v1, 2, v15
	v_and_or_b32 v6, 0x1ff, v12, v11
	v_lshrrev_b32_e32 v15, 8, v12
	v_cndmask_b32_e64 v16, v17, v20, s2
	s_or_b32 s0, s1, s0
	v_bfe_u32 v17, v12, 20, 11
	v_add_co_ci_u32_e64 v1, s0, 0, v1, s0
	v_cmp_ne_u32_e64 s0, 0, v6
	v_lshrrev_b32_e32 v11, 16, v7
	v_mad_u64_u32 v[6:7], null, s12, v0, 0
	v_sub_nc_u32_e32 v20, 0x3f1, v17
	v_cndmask_b32_e64 v14, 0, 1, s0
	v_cmp_ne_u32_e64 s0, 0, v8
	v_and_or_b32 v16, 0x8000, v11, v16
	v_mov_b32_e32 v11, v13
	v_lshrrev_b32_e32 v12, 16, v12
	v_and_or_b32 v19, 0xffe, v15, v14
	v_cndmask_b32_e64 v8, 0, 1, s0
	v_mul_f64 v[14:15], v[3:4], s[4:5]
	v_cmp_gt_i32_e64 s0, 31, v18
	ds_read2st64_b32 v[3:4], v53 offset0:72 offset1:80
	v_or_b32_e32 v22, 0x1000, v19
	v_lshl_or_b32 v8, v8, 9, 0x7c00
	v_and_b32_e32 v13, 0xffff, v16
	v_cndmask_b32_e64 v21, 0x7c00, v1, s0
	v_mov_b32_e32 v1, v7
	v_med3_i32 v7, v20, 0, 13
	v_cmp_eq_u32_e64 s0, 0x40f, v18
	v_add_nc_u32_e32 v16, 0xfffffc10, v17
	v_mad_u64_u32 v[0:1], null, s13, v0, v[1:2]
	v_cndmask_b32_e64 v8, v21, v8, s0
	v_lshrrev_b32_e32 v1, 16, v9
	v_lshrrev_b32_e32 v9, v7, v22
	v_and_or_b32 v8, 0x8000, v1, v8
	v_lshlrev_b32_e32 v1, v7, v9
	v_mov_b32_e32 v7, v0
	v_and_or_b32 v0, 0x1ff, v15, v14
	s_waitcnt lgkmcnt(0)
	v_lshrrev_b32_e32 v14, 16, v3
	v_lshrrev_b32_e32 v18, 8, v15
	v_cmp_ne_u32_e64 s0, v1, v22
	v_bfe_u32 v20, v15, 20, 11
	v_lshl_or_b32 v13, v8, 16, v13
	v_mul_f16_sdwa v17, v70, v14 dst_sel:DWORD dst_unused:UNUSED_PAD src0_sel:WORD_1 src1_sel:DWORD
	v_lshrrev_b32_e32 v15, 16, v15
	v_cndmask_b32_e64 v1, 0, 1, s0
	v_cmp_ne_u32_e64 s0, 0, v0
	v_fmac_f16_e32 v17, v70, v3
	v_mul_f16_sdwa v3, v70, v3 dst_sel:DWORD dst_unused:UNUSED_PAD src0_sel:WORD_1 src1_sel:DWORD
	v_or_b32_e32 v1, v9, v1
	v_cndmask_b32_e64 v0, 0, 1, s0
	v_lshl_or_b32 v9, v16, 12, v19
	v_cmp_gt_i32_e64 s0, 1, v16
	v_fma_f16 v3, v70, v14, -v3
	v_and_or_b32 v18, 0xffe, v18, v0
	v_sub_nc_u32_e32 v0, 0x3f1, v20
	v_cndmask_b32_e64 v21, v9, v1, s0
	v_cvt_f32_f16_e32 v9, v17
	v_cvt_f32_f16_e32 v3, v3
	v_or_b32_e32 v17, 0x1000, v18
	v_med3_i32 v22, v0, 0, 13
	v_lshlrev_b64 v[0:1], 2, v[10:11]
	v_cvt_f64_f32_e32 v[8:9], v9
	v_and_b32_e32 v10, 7, v21
	v_lshrrev_b32_e32 v11, v22, v17
	v_add_co_u32 v23, s0, s10, v0
	v_add_co_ci_u32_e64 v24, s0, s11, v1, s0
	v_lshlrev_b64 v[0:1], 2, v[6:7]
	v_lshlrev_b32_e32 v6, v22, v11
	v_cmp_lt_i32_e64 s0, 5, v10
	v_cmp_eq_u32_e64 s1, 3, v10
	v_lshrrev_b32_e32 v7, 2, v21
	v_cmp_ne_u32_e64 s2, v6, v17
	v_add_nc_u32_e32 v17, 0xfffffc10, v20
	s_or_b32 s0, s1, s0
	v_add_co_ci_u32_e64 v10, s0, 0, v7, s0
	v_cndmask_b32_e64 v6, 0, 1, s2
	v_cmp_ne_u32_e64 s0, 0, v19
	v_lshl_or_b32 v14, v17, 12, v18
	s_mul_i32 s2, s12, 0x900
	v_or_b32_e32 v11, v11, v6
	v_cndmask_b32_e64 v19, 0, 1, s0
	v_cmp_gt_i32_e64 s0, 1, v17
	v_mul_f64 v[6:7], v[8:9], s[4:5]
	v_cvt_f64_f32_e32 v[8:9], v3
	v_lshl_or_b32 v19, v19, 9, 0x7c00
	v_cndmask_b32_e64 v14, v14, v11, s0
	v_cmp_gt_i32_e64 s0, 31, v16
	v_and_b32_e32 v20, 7, v14
	v_cndmask_b32_e64 v3, 0x7c00, v10, s0
	v_add_co_u32 v10, s0, v23, v0
	v_add_co_ci_u32_e64 v11, s0, v24, v1, s0
	v_cmp_eq_u32_e64 s0, 0x40f, v16
	v_cmp_eq_u32_e64 s1, 3, v20
	ds_read2st64_b32 v[0:1], v53 offset0:108 offset1:116
	global_store_dword v[10:11], v13, off
	v_lshrrev_b32_e32 v13, 2, v14
	v_cndmask_b32_e64 v3, v3, v19, s0
	v_cmp_lt_i32_e64 s0, 5, v20
	v_and_or_b32 v6, 0x1ff, v7, v6
	v_mul_f64 v[8:9], v[8:9], s[4:5]
	v_lshrrev_b32_e32 v14, 8, v7
	v_and_or_b32 v3, 0x8000, v12, v3
	s_or_b32 s0, s1, s0
	v_bfe_u32 v16, v7, 20, 11
	v_add_co_ci_u32_e64 v12, s0, 0, v13, s0
	v_cmp_ne_u32_e64 s0, 0, v18
	s_mul_hi_u32 s1, s12, 0x900
	v_sub_nc_u32_e32 v18, 0x3f1, v16
	v_add_nc_u32_e32 v16, 0xfffffc10, v16
	v_and_b32_e32 v3, 0xffff, v3
	v_cndmask_b32_e64 v13, 0, 1, s0
	v_cmp_ne_u32_e64 s0, 0, v6
	v_med3_i32 v18, v18, 0, 13
	v_lshl_or_b32 v13, v13, 9, 0x7c00
	v_cndmask_b32_e64 v6, 0, 1, s0
	v_cmp_gt_i32_e64 s0, 31, v17
	v_and_or_b32 v8, 0x1ff, v9, v8
	v_and_or_b32 v6, 0xffe, v14, v6
	v_cndmask_b32_e64 v12, 0x7c00, v12, s0
	s_waitcnt lgkmcnt(0)
	v_lshrrev_b32_e32 v14, 16, v0
	v_cmp_eq_u32_e64 s0, 0x40f, v17
	v_lshrrev_b32_e32 v20, 8, v9
	v_or_b32_e32 v17, 0x1000, v6
	v_bfe_u32 v21, v9, 20, 11
	v_cndmask_b32_e64 v12, v12, v13, s0
	v_mul_f16_sdwa v13, v69, v14 dst_sel:DWORD dst_unused:UNUSED_PAD src0_sel:WORD_1 src1_sel:DWORD
	v_lshrrev_b32_e32 v19, v18, v17
	s_mul_i32 s0, s13, 0x900
	s_add_i32 s3, s1, s0
	v_fmac_f16_e32 v13, v69, v0
	v_lshlrev_b32_e32 v18, v18, v19
	v_cmp_ne_u32_e64 s0, 0, v8
	v_and_or_b32 v15, 0x8000, v15, v12
	v_mul_f16_sdwa v0, v69, v0 dst_sel:DWORD dst_unused:UNUSED_PAD src0_sel:WORD_1 src1_sel:DWORD
	v_cvt_f32_f16_e32 v12, v13
	s_lshl_b64 s[6:7], s[2:3], 2
	v_cndmask_b32_e64 v8, 0, 1, s0
	v_cmp_ne_u32_e64 s0, v18, v17
	v_sub_nc_u32_e32 v18, 0x3f1, v21
	v_cvt_f64_f32_e32 v[12:13], v12
	v_fma_f16 v0, v69, v14, -v0
	v_and_or_b32 v8, 0xffe, v20, v8
	v_cndmask_b32_e64 v17, 0, 1, s0
	v_med3_i32 v18, v18, 0, 13
	v_cmp_gt_i32_e64 s0, 1, v16
	v_cvt_f32_f16_e32 v0, v0
	v_or_b32_e32 v20, 0x1000, v8
	v_or_b32_e32 v17, v19, v17
	v_lshl_or_b32 v19, v16, 12, v6
	v_lshl_or_b32 v3, v15, 16, v3
	v_cvt_f64_f32_e32 v[14:15], v0
	v_cndmask_b32_e64 v17, v19, v17, s0
	v_lshrrev_b32_e32 v19, v18, v20
	v_add_co_u32 v10, s0, v10, s6
	v_add_co_ci_u32_e64 v11, s0, s7, v11, s0
	v_lshlrev_b32_e32 v18, v18, v19
	v_and_b32_e32 v22, 7, v17
	v_mul_f64 v[12:13], v[12:13], s[4:5]
	global_store_dword v[10:11], v3, off
	v_lshrrev_b32_e32 v3, 2, v17
	v_cmp_ne_u32_e64 s1, v18, v20
	v_cmp_lt_i32_e64 s0, 5, v22
	v_add_nc_u32_e32 v18, 0xfffffc10, v21
	v_cndmask_b32_e64 v0, 0, 1, s1
	v_cmp_eq_u32_e64 s1, 3, v22
	v_lshl_or_b32 v17, v18, 12, v8
	v_mul_f64 v[14:15], v[14:15], s[4:5]
	v_or_b32_e32 v0, v19, v0
	s_or_b32 s0, s1, s0
	v_add_co_ci_u32_e64 v3, s0, 0, v3, s0
	v_cmp_ne_u32_e64 s0, 0, v6
	v_and_or_b32 v12, 0x1ff, v13, v12
	v_cndmask_b32_e64 v6, 0, 1, s0
	v_cmp_gt_i32_e64 s0, 1, v18
	v_lshrrev_b32_e32 v19, 8, v13
	v_bfe_u32 v20, v13, 20, 11
	v_lshrrev_b32_e32 v13, 16, v13
	v_lshl_or_b32 v6, v6, 9, 0x7c00
	v_cndmask_b32_e64 v0, v17, v0, s0
	v_cmp_gt_i32_e64 s0, 31, v16
	v_and_or_b32 v14, 0x1ff, v15, v14
	v_and_b32_e32 v17, 7, v0
	v_cndmask_b32_e64 v3, 0x7c00, v3, s0
	v_cmp_ne_u32_e64 s0, 0, v12
	v_lshrrev_b32_e32 v0, 2, v0
	v_lshrrev_b32_e32 v22, 8, v15
	v_cmp_eq_u32_e64 s1, 3, v17
	v_bfe_u32 v23, v15, 20, 11
	v_cndmask_b32_e64 v12, 0, 1, s0
	v_cmp_eq_u32_e64 s0, 0x40f, v16
	v_lshrrev_b32_e32 v16, 16, v7
	v_lshrrev_b32_e32 v15, 16, v15
	v_and_or_b32 v12, 0xffe, v19, v12
	v_cndmask_b32_e64 v3, v3, v6, s0
	v_cmp_lt_i32_e64 s0, 5, v17
	v_sub_nc_u32_e32 v6, 0x3f1, v20
	v_lshrrev_b32_e32 v17, 16, v5
	v_or_b32_e32 v7, 0x1000, v12
	v_add_nc_u32_e32 v20, 0xfffffc10, v20
	s_or_b32 s0, s1, s0
	v_med3_i32 v6, v6, 0, 13
	v_add_co_ci_u32_e64 v0, s0, 0, v0, s0
	v_cmp_ne_u32_e64 s0, 0, v8
	v_mul_f16_sdwa v21, v68, v17 dst_sel:DWORD dst_unused:UNUSED_PAD src0_sel:WORD_1 src1_sel:DWORD
	v_lshrrev_b32_e32 v19, v6, v7
	v_and_or_b32 v3, 0x8000, v16, v3
	v_cndmask_b32_e64 v8, 0, 1, s0
	v_cmp_gt_i32_e64 s0, 31, v18
	v_fmac_f16_e32 v21, v68, v5
	v_lshlrev_b32_e32 v6, v6, v19
	v_mul_f16_sdwa v5, v68, v5 dst_sel:DWORD dst_unused:UNUSED_PAD src0_sel:WORD_1 src1_sel:DWORD
	v_lshl_or_b32 v8, v8, 9, 0x7c00
	v_cndmask_b32_e64 v0, 0x7c00, v0, s0
	v_cmp_ne_u32_e64 s0, 0, v14
	v_cvt_f32_f16_e32 v21, v21
	v_fma_f16 v5, v68, v17, -v5
	v_and_b32_e32 v3, 0xffff, v3
	v_cndmask_b32_e64 v14, 0, 1, s0
	v_cmp_ne_u32_e64 s0, v6, v7
	v_cvt_f64_f32_e32 v[6:7], v21
	v_sub_nc_u32_e32 v21, 0x3f1, v23
	v_cvt_f32_f16_e32 v17, v5
	v_and_or_b32 v14, 0xffe, v22, v14
	v_cndmask_b32_e64 v24, 0, 1, s0
	v_cmp_eq_u32_e64 s0, 0x40f, v18
	v_lshl_or_b32 v18, v20, 12, v12
	v_med3_i32 v21, v21, 0, 13
	v_cndmask_b32_e64 v0, v0, v8, s0
	v_or_b32_e32 v8, v19, v24
	v_or_b32_e32 v19, 0x1000, v14
	v_cmp_gt_i32_e64 s0, 1, v20
	v_cndmask_b32_e64 v18, v18, v8, s0
	v_lshrrev_b32_e32 v8, 16, v9
	v_lshrrev_b32_e32 v9, v21, v19
	v_mul_f64 v[5:6], v[6:7], s[4:5]
	v_and_b32_e32 v16, 7, v18
	v_and_or_b32 v0, 0x8000, v8, v0
	v_lshlrev_b32_e32 v8, v21, v9
	v_lshrrev_b32_e32 v21, 16, v2
	v_cmp_lt_i32_e64 s0, 5, v16
	v_lshl_or_b32 v0, v0, 16, v3
	v_cmp_ne_u32_e64 s1, v8, v19
	v_lshrrev_b32_e32 v3, 2, v18
	v_cvt_f64_f32_e32 v[7:8], v17
	v_add_nc_u32_e32 v17, 0xfffffc10, v23
	v_cndmask_b32_e64 v19, 0, 1, s1
	v_cmp_eq_u32_e64 s1, 3, v16
	v_lshl_or_b32 v16, v17, 12, v14
	v_or_b32_e32 v9, v9, v19
	s_or_b32 s0, s1, s0
	v_add_co_ci_u32_e64 v3, s0, 0, v3, s0
	v_cmp_gt_i32_e64 s0, 1, v17
	v_and_or_b32 v5, 0x1ff, v6, v5
	v_lshrrev_b32_e32 v18, 8, v6
	v_bfe_u32 v19, v6, 20, 11
	v_cndmask_b32_e64 v16, v16, v9, s0
	v_add_co_u32 v9, s0, v10, s6
	v_add_co_ci_u32_e64 v10, s0, s7, v11, s0
	v_cmp_gt_i32_e64 s0, 31, v20
	v_and_b32_e32 v11, 7, v16
	v_cmp_ne_u32_e64 s1, 0, v5
	v_mul_f64 v[7:8], v[7:8], s[4:5]
	global_store_dword v[9:10], v0, off
	v_cndmask_b32_e64 v3, 0x7c00, v3, s0
	v_cmp_ne_u32_e64 s0, 0, v12
	v_cndmask_b32_e64 v5, 0, 1, s1
	v_cmp_eq_u32_e64 s1, 3, v11
	v_cndmask_b32_e64 v12, 0, 1, s0
	v_cmp_lt_i32_e64 s0, 5, v11
	v_and_or_b32 v5, 0xffe, v18, v5
	v_lshl_or_b32 v11, v12, 9, 0x7c00
	v_lshrrev_b32_e32 v12, 2, v16
	s_or_b32 s0, s1, s0
	v_sub_nc_u32_e32 v16, 0x3f1, v19
	v_or_b32_e32 v18, 0x1000, v5
	v_add_co_ci_u32_e64 v12, s0, 0, v12, s0
	v_cmp_eq_u32_e64 s0, 0x40f, v20
	v_med3_i32 v16, v16, 0, 13
	v_and_or_b32 v7, 0x1ff, v8, v7
	v_lshrrev_b32_e32 v22, 8, v8
	v_bfe_u32 v23, v8, 20, 11
	v_cndmask_b32_e64 v3, v3, v11, s0
	v_cmp_gt_i32_e64 s0, 31, v17
	v_lshrrev_b32_e32 v11, v16, v18
	v_and_or_b32 v0, 0x8000, v13, v3
	v_cndmask_b32_e64 v20, 0x7c00, v12, s0
	v_cmp_ne_u32_e64 s0, 0, v14
	v_lshlrev_b32_e32 v14, v16, v11
	v_mul_f16_sdwa v16, v67, v21 dst_sel:DWORD dst_unused:UNUSED_PAD src0_sel:WORD_1 src1_sel:DWORD
	v_and_b32_e32 v0, 0xffff, v0
	v_cndmask_b32_e64 v12, 0, 1, s0
	v_cmp_ne_u32_e64 s0, 0, v7
	v_fmac_f16_e32 v16, v67, v2
	v_mul_f16_sdwa v2, v67, v2 dst_sel:DWORD dst_unused:UNUSED_PAD src0_sel:WORD_1 src1_sel:DWORD
	v_lshl_or_b32 v24, v12, 9, 0x7c00
	v_cndmask_b32_e64 v7, 0, 1, s0
	v_cmp_ne_u32_e64 s0, v14, v18
	v_add_nc_u32_e32 v18, 0xfffffc10, v19
	v_sub_nc_u32_e32 v19, 0x3f1, v23
	v_and_or_b32 v7, 0xffe, v22, v7
	v_cndmask_b32_e64 v14, 0, 1, s0
	v_cmp_gt_i32_e64 s0, 1, v18
	v_med3_i32 v19, v19, 0, 13
	v_cmp_eq_u32_e64 s2, 0x40f, v18
	v_or_b32_e32 v22, 0x1000, v7
	v_or_b32_e32 v14, v11, v14
	v_cvt_f32_f16_e32 v11, v16
	v_lshl_or_b32 v16, v18, 12, v5
	v_cvt_f64_f32_e32 v[11:12], v11
	v_cndmask_b32_e64 v14, v16, v14, s0
	v_lshrrev_b32_e32 v16, v19, v22
	v_cmp_eq_u32_e64 s0, 0x40f, v17
	v_lshlrev_b32_e32 v19, v19, v16
	v_cndmask_b32_e64 v17, v20, v24, s0
	v_and_b32_e32 v20, 7, v14
	v_lshrrev_b32_e32 v14, 2, v14
	v_cmp_ne_u32_e64 s1, v19, v22
	v_and_or_b32 v13, 0x8000, v15, v17
	v_cmp_lt_i32_e64 s0, 5, v20
	v_add_nc_u32_e32 v15, 0xfffffc10, v23
	v_fma_f16 v19, v67, v21, -v2
	v_cndmask_b32_e64 v3, 0, 1, s1
	v_cmp_eq_u32_e64 s1, 3, v20
	v_lshl_or_b32 v0, v13, 16, v0
	v_lshl_or_b32 v17, v15, 12, v7
	v_mul_f16_sdwa v21, v66, v4 dst_sel:DWORD dst_unused:UNUSED_PAD src0_sel:WORD_1 src1_sel:DWORD
	v_or_b32_e32 v16, v16, v3
	s_or_b32 s0, s1, s0
	v_mul_f64 v[2:3], v[11:12], s[4:5]
	v_add_co_ci_u32_e64 v14, s0, 0, v14, s0
	v_cmp_gt_i32_e64 s0, 1, v15
	v_cvt_f32_f16_e32 v11, v19
	v_lshrrev_b32_e32 v22, 16, v1
	v_cndmask_b32_e64 v16, v17, v16, s0
	v_cmp_ne_u32_e64 s0, 0, v5
	v_cvt_f64_f32_e32 v[11:12], v11
	v_and_b32_e32 v17, 7, v16
	v_cndmask_b32_e64 v5, 0, 1, s0
	v_cmp_gt_i32_e64 s0, 31, v18
	v_cmp_eq_u32_e64 s1, 3, v17
	v_lshl_or_b32 v5, v5, 9, 0x7c00
	v_cndmask_b32_e64 v14, 0x7c00, v14, s0
	v_cmp_lt_i32_e64 s0, 5, v17
	v_and_or_b32 v2, 0x1ff, v3, v2
	v_lshrrev_b32_e32 v17, 8, v3
	v_cndmask_b32_e64 v13, v14, v5, s2
	v_lshrrev_b32_e32 v5, 2, v16
	s_or_b32 s0, s1, s0
	v_lshrrev_b32_e32 v14, 16, v6
	s_mul_hi_u32 s2, s12, 0xffffe700
	s_mul_i32 s1, s13, 0xffffe700
	v_add_co_ci_u32_e64 v16, s0, 0, v5, s0
	v_cmp_ne_u32_e64 s0, 0, v7
	v_mul_f64 v[5:6], v[11:12], s[4:5]
	v_bfe_u32 v11, v3, 20, 11
	v_and_or_b32 v13, 0x8000, v14, v13
	v_cndmask_b32_e64 v7, 0, 1, s0
	v_cmp_ne_u32_e64 s0, 0, v2
	v_and_b32_e32 v13, 0xffff, v13
	v_lshl_or_b32 v7, v7, 9, 0x7c00
	v_cndmask_b32_e64 v2, 0, 1, s0
	v_cmp_gt_i32_e64 s0, 31, v15
	v_and_or_b32 v2, 0xffe, v17, v2
	v_cndmask_b32_e64 v12, 0x7c00, v16, s0
	v_sub_nc_u32_e32 v16, 0x3f1, v11
	v_lshrrev_b32_e32 v17, 16, v4
	v_cmp_eq_u32_e64 s0, 0x40f, v15
	v_or_b32_e32 v18, 0x1000, v2
	v_lshrrev_b32_e32 v15, 16, v8
	v_med3_i32 v16, v16, 0, 13
	v_mul_f16_sdwa v19, v66, v17 dst_sel:DWORD dst_unused:UNUSED_PAD src0_sel:WORD_1 src1_sel:DWORD
	v_cndmask_b32_e64 v12, v12, v7, s0
	v_and_or_b32 v5, 0x1ff, v6, v5
	v_add_co_u32 v7, s0, v9, s6
	v_lshrrev_b32_e32 v14, v16, v18
	v_add_co_ci_u32_e64 v8, s0, s7, v10, s0
	v_fmac_f16_e32 v19, v66, v4
	v_and_or_b32 v12, 0x8000, v15, v12
	v_lshlrev_b32_e32 v15, v16, v14
	v_cmp_ne_u32_e64 s0, 0, v5
	v_lshrrev_b32_e32 v16, 8, v6
	v_cvt_f32_f16_e32 v9, v19
	v_bfe_u32 v19, v6, 20, 11
	v_lshl_or_b32 v13, v12, 16, v13
	v_cndmask_b32_e64 v5, 0, 1, s0
	v_cmp_ne_u32_e64 s0, v15, v18
	v_cvt_f64_f32_e32 v[9:10], v9
	v_add_nc_u32_e32 v18, 0xfffffc10, v11
	v_fma_f16 v17, v66, v17, -v21
	v_and_or_b32 v16, 0xffe, v16, v5
	v_cndmask_b32_e64 v15, 0, 1, s0
	v_sub_nc_u32_e32 v5, 0x3f1, v19
	s_sub_i32 s0, s2, s12
	v_cvt_f32_f16_e32 v17, v17
	s_add_i32 s1, s0, s1
	v_or_b32_e32 v11, v14, v15
	v_lshl_or_b32 v14, v18, 12, v2
	v_or_b32_e32 v15, 0x1000, v16
	v_med3_i32 v5, v5, 0, 13
	v_cmp_gt_i32_e64 s0, 1, v18
	v_add_nc_u32_e32 v19, 0xfffffc10, v19
	v_lshrrev_b32_e32 v6, 16, v6
	v_cndmask_b32_e64 v11, v14, v11, s0
	v_lshrrev_b32_e32 v14, v5, v15
	s_mul_i32 s0, s12, 0xffffe700
	s_lshl_b64 s[8:9], s[0:1], 2
	v_and_b32_e32 v12, 7, v11
	v_lshlrev_b32_e32 v20, v5, v14
	v_mul_f64 v[9:10], v[9:10], s[4:5]
	v_add_co_u32 v4, s0, v7, s8
	v_add_co_ci_u32_e64 v5, s0, s9, v8, s0
	v_cmp_ne_u32_e64 s1, v20, v15
	v_cmp_lt_i32_e64 s0, 5, v12
	v_lshrrev_b32_e32 v20, 2, v11
	global_store_dword v[7:8], v0, off
	global_store_dword v[4:5], v13, off
	v_cndmask_b32_e64 v15, 0, 1, s1
	v_cmp_eq_u32_e64 s1, 3, v12
	v_cvt_f64_f32_e32 v[11:12], v17
	v_or_b32_e32 v14, v14, v15
	s_or_b32 s0, s1, s0
	v_lshl_or_b32 v15, v19, 12, v16
	v_add_co_ci_u32_e64 v17, s0, 0, v20, s0
	v_cmp_ne_u32_e64 s0, 0, v2
	v_and_or_b32 v9, 0x1ff, v10, v9
	v_lshrrev_b32_e32 v20, 8, v10
	v_bfe_u32 v21, v10, 20, 11
	v_cndmask_b32_e64 v2, 0, 1, s0
	v_cmp_gt_i32_e64 s0, 1, v19
	v_lshrrev_b32_e32 v10, 16, v10
	v_lshl_or_b32 v2, v2, 9, 0x7c00
	v_cndmask_b32_e64 v14, v15, v14, s0
	v_cmp_gt_i32_e64 s0, 31, v18
	v_cndmask_b32_e64 v15, 0x7c00, v17, s0
	v_cmp_ne_u32_e64 s0, 0, v9
	v_and_b32_e32 v17, 7, v14
	v_cndmask_b32_e64 v9, 0, 1, s0
	v_cmp_eq_u32_e64 s0, 0x40f, v18
	v_cmp_eq_u32_e64 s1, 3, v17
	v_lshrrev_b32_e32 v18, 16, v3
	v_and_or_b32 v20, 0xffe, v20, v9
	v_cndmask_b32_e64 v15, v15, v2, s0
	v_cmp_lt_i32_e64 s0, 5, v17
	v_mul_f64 v[2:3], v[11:12], s[4:5]
	v_lshrrev_b32_e32 v11, 2, v14
	v_sub_nc_u32_e32 v9, 0x3f1, v21
	v_or_b32_e32 v14, 0x1000, v20
	s_or_b32 s0, s1, s0
	v_mul_f16_sdwa v12, v65, v22 dst_sel:DWORD dst_unused:UNUSED_PAD src0_sel:WORD_1 src1_sel:DWORD
	v_add_co_ci_u32_e64 v11, s0, 0, v11, s0
	v_med3_i32 v9, v9, 0, 13
	v_cmp_ne_u32_e64 s0, 0, v16
	v_fmac_f16_e32 v12, v65, v1
	v_and_or_b32 v15, 0x8000, v18, v15
	v_mul_f16_sdwa v1, v65, v1 dst_sel:DWORD dst_unused:UNUSED_PAD src0_sel:WORD_1 src1_sel:DWORD
	v_lshrrev_b32_e32 v17, v9, v14
	v_cndmask_b32_e64 v16, 0, 1, s0
	v_cmp_gt_i32_e64 s0, 31, v19
	v_cvt_f32_f16_e32 v12, v12
	v_and_b32_e32 v15, 0xffff, v15
	v_lshlrev_b32_e32 v9, v9, v17
	v_lshl_or_b32 v16, v16, 9, 0x7c00
	v_cndmask_b32_e64 v11, 0x7c00, v11, s0
	v_cmp_eq_u32_e64 s0, 0x40f, v19
	v_and_or_b32 v2, 0x1ff, v3, v2
	v_lshrrev_b32_e32 v18, 8, v3
	v_bfe_u32 v19, v3, 20, 11
	v_cndmask_b32_e64 v16, v11, v16, s0
	v_cmp_ne_u32_e64 s0, v9, v14
	v_cvt_f64_f32_e32 v[11:12], v12
	v_add_nc_u32_e32 v14, 0xfffffc10, v21
	v_and_or_b32 v6, 0x8000, v6, v16
	v_cndmask_b32_e64 v9, 0, 1, s0
	v_cmp_ne_u32_e64 s0, 0, v2
	v_lshl_or_b32 v16, v14, 12, v20
	v_lshl_or_b32 v13, v6, 16, v15
	v_or_b32_e32 v9, v17, v9
	v_cndmask_b32_e64 v2, 0, 1, s0
	v_sub_nc_u32_e32 v17, 0x3f1, v19
	v_cmp_gt_i32_e64 s0, 1, v14
	v_and_or_b32 v2, 0xffe, v18, v2
	v_med3_i32 v17, v17, 0, 13
	v_cndmask_b32_e64 v9, v16, v9, s0
	v_add_co_u32 v4, s0, v4, s6
	v_or_b32_e32 v16, 0x1000, v2
	v_add_co_ci_u32_e64 v5, s0, s7, v5, s0
	v_and_b32_e32 v0, 7, v9
	v_mul_f64 v[6:7], v[11:12], s[4:5]
	v_lshrrev_b32_e32 v8, v17, v16
	global_store_dword v[4:5], v13, off
	v_cmp_lt_i32_e64 s0, 5, v0
	v_cmp_eq_u32_e64 s1, 3, v0
	v_lshlrev_b32_e32 v11, v17, v8
	v_fma_f16 v0, v65, v22, -v1
	v_lshrrev_b32_e32 v1, 2, v9
	s_or_b32 s0, s1, s0
	v_cmp_ne_u32_e64 s2, v11, v16
	v_cvt_f32_f16_e32 v0, v0
	v_add_co_ci_u32_e64 v12, s0, 0, v1, s0
	v_add_nc_u32_e32 v11, 0xfffffc10, v19
	v_cndmask_b32_e64 v9, 0, 1, s2
	v_cmp_ne_u32_e64 s0, 0, v20
	v_lshl_or_b32 v16, v11, 12, v2
	v_or_b32_e32 v15, v8, v9
	v_cvt_f64_f32_e32 v[8:9], v0
	v_cndmask_b32_e64 v17, 0, 1, s0
	v_cmp_gt_i32_e64 s0, 1, v11
	ds_read2st64_b32 v[0:1], v53 offset0:16 offset1:24
	v_and_or_b32 v6, 0x1ff, v7, v6
	v_lshrrev_b32_e32 v18, 8, v7
	v_bfe_u32 v19, v7, 20, 11
	v_cndmask_b32_e64 v15, v16, v15, s0
	v_cmp_gt_i32_e64 s0, 31, v14
	v_lshl_or_b32 v16, v17, 9, 0x7c00
	v_lshrrev_b32_e32 v7, 16, v7
	v_and_b32_e32 v17, 7, v15
	v_cndmask_b32_e64 v12, 0x7c00, v12, s0
	v_cmp_ne_u32_e64 s0, 0, v6
	v_lshrrev_b32_e32 v15, 2, v15
	v_cmp_eq_u32_e64 s1, 3, v17
	v_cndmask_b32_e64 v6, 0, 1, s0
	v_cmp_eq_u32_e64 s0, 0x40f, v14
	v_mul_f64 v[8:9], v[8:9], s[4:5]
	v_and_or_b32 v14, 0xffe, v18, v6
	v_cndmask_b32_e64 v12, v12, v16, s0
	v_cmp_lt_i32_e64 s0, 5, v17
	v_sub_nc_u32_e32 v6, 0x3f1, v19
	s_waitcnt lgkmcnt(0)
	v_lshrrev_b32_e32 v16, 16, v0
	v_or_b32_e32 v17, 0x1000, v14
	v_and_or_b32 v10, 0x8000, v10, v12
	s_or_b32 s0, s1, s0
	v_med3_i32 v6, v6, 0, 13
	v_add_co_ci_u32_e64 v15, s0, 0, v15, s0
	v_cmp_ne_u32_e64 s0, 0, v2
	v_mul_f16_sdwa v18, v64, v16 dst_sel:DWORD dst_unused:UNUSED_PAD src0_sel:WORD_1 src1_sel:DWORD
	v_lshrrev_b32_e32 v20, v6, v17
	v_and_b32_e32 v10, 0xffff, v10
	v_cndmask_b32_e64 v2, 0, 1, s0
	v_cmp_gt_i32_e64 s0, 31, v11
	v_fmac_f16_e32 v18, v64, v0
	v_lshlrev_b32_e32 v6, v6, v20
	v_and_or_b32 v8, 0x1ff, v9, v8
	v_lshl_or_b32 v2, v2, 9, 0x7c00
	v_cndmask_b32_e64 v15, 0x7c00, v15, s0
	v_cmp_eq_u32_e64 s0, 0x40f, v11
	v_cvt_f32_f16_e32 v12, v18
	v_bfe_u32 v18, v9, 20, 11
	v_mul_f16_sdwa v0, v64, v0 dst_sel:DWORD dst_unused:UNUSED_PAD src0_sel:WORD_1 src1_sel:DWORD
	v_cndmask_b32_e64 v11, v15, v2, s0
	v_cmp_ne_u32_e64 s0, v6, v17
	v_lshrrev_b32_e32 v15, 16, v3
	v_cvt_f64_f32_e32 v[2:3], v12
	v_add_nc_u32_e32 v17, 0xfffffc10, v19
	v_lshrrev_b32_e32 v12, 8, v9
	v_cndmask_b32_e64 v6, 0, 1, s0
	v_cmp_ne_u32_e64 s0, 0, v8
	v_and_or_b32 v11, 0x8000, v15, v11
	v_lshl_or_b32 v15, v17, 12, v14
	v_fma_f16 v0, v64, v16, -v0
	v_or_b32_e32 v6, v20, v6
	v_cndmask_b32_e64 v8, 0, 1, s0
	v_cmp_gt_i32_e64 s0, 1, v17
	v_lshl_or_b32 v20, v11, 16, v10
	v_cvt_f32_f16_e32 v0, v0
	v_lshrrev_b32_e32 v9, 16, v9
	v_and_or_b32 v8, 0xffe, v12, v8
	v_sub_nc_u32_e32 v12, 0x3f1, v18
	v_cndmask_b32_e64 v6, v15, v6, s0
	v_or_b32_e32 v15, 0x1000, v8
	v_med3_i32 v19, v12, 0, 13
	v_and_b32_e32 v21, 7, v6
	v_mul_f64 v[10:11], v[2:3], s[4:5]
	v_add_co_u32 v12, s0, v4, s6
	v_lshrrev_b32_e32 v22, v19, v15
	v_add_co_ci_u32_e64 v13, s0, s7, v5, s0
	v_cmp_lt_i32_e64 s0, 5, v21
	v_cmp_eq_u32_e64 s1, 3, v21
	v_lshrrev_b32_e32 v3, 2, v6
	v_lshlrev_b32_e32 v2, v19, v22
	v_cvt_f64_f32_e32 v[5:6], v0
	global_store_dword v[12:13], v20, off
	s_or_b32 s0, s1, s0
	v_add_co_ci_u32_e64 v0, s0, 0, v3, s0
	v_cmp_ne_u32_e64 s2, v2, v15
	v_cmp_ne_u32_e64 s0, 0, v14
	v_add_nc_u32_e32 v15, 0xfffffc10, v18
	ds_read2st64_b32 v[3:4], v53 offset0:52 offset1:60
	v_cndmask_b32_e64 v2, 0, 1, s2
	v_cndmask_b32_e64 v14, 0, 1, s0
	v_cmp_gt_i32_e64 s0, 31, v17
	v_lshl_or_b32 v16, v15, 12, v8
	v_and_or_b32 v10, 0x1ff, v11, v10
	v_or_b32_e32 v2, v22, v2
	v_lshl_or_b32 v14, v14, 9, 0x7c00
	v_cndmask_b32_e64 v0, 0x7c00, v0, s0
	v_cmp_gt_i32_e64 s0, 1, v15
	v_bfe_u32 v18, v11, 20, 11
	v_mul_f64 v[5:6], v[5:6], s[4:5]
	v_cndmask_b32_e64 v2, v16, v2, s0
	v_cmp_ne_u32_e64 s0, 0, v10
	v_lshrrev_b32_e32 v16, 8, v11
	v_lshrrev_b32_e32 v11, 16, v11
	s_waitcnt lgkmcnt(0)
	v_lshrrev_b32_e32 v19, 16, v3
	v_cndmask_b32_e64 v10, 0, 1, s0
	v_cmp_eq_u32_e64 s0, 0x40f, v17
	v_and_or_b32 v16, 0xffe, v16, v10
	v_cndmask_b32_e64 v0, v0, v14, s0
	v_and_b32_e32 v14, 7, v2
	v_sub_nc_u32_e32 v10, 0x3f1, v18
	v_lshrrev_b32_e32 v2, 2, v2
	v_or_b32_e32 v17, 0x1000, v16
	v_and_or_b32 v0, 0x8000, v7, v0
	v_cmp_lt_i32_e64 s0, 5, v14
	v_cmp_eq_u32_e64 s1, 3, v14
	v_med3_i32 v10, v10, 0, 13
	v_mul_f16_sdwa v7, v63, v19 dst_sel:DWORD dst_unused:UNUSED_PAD src0_sel:WORD_1 src1_sel:DWORD
	v_and_or_b32 v5, 0x1ff, v6, v5
	v_bfe_u32 v22, v6, 20, 11
	s_or_b32 s0, s1, s0
	v_lshrrev_b32_e32 v14, v10, v17
	v_add_co_ci_u32_e64 v2, s0, 0, v2, s0
	v_cmp_ne_u32_e64 s0, 0, v8
	v_fmac_f16_e32 v7, v63, v3
	v_lshlrev_b32_e32 v10, v10, v14
	v_add_nc_u32_e32 v18, 0xfffffc10, v18
	v_and_b32_e32 v0, 0xffff, v0
	v_cndmask_b32_e64 v8, 0, 1, s0
	v_cmp_gt_i32_e64 s0, 31, v15
	v_cvt_f32_f16_e32 v7, v7
	v_mul_f16_sdwa v3, v63, v3 dst_sel:DWORD dst_unused:UNUSED_PAD src0_sel:WORD_1 src1_sel:DWORD
	v_lshl_or_b32 v21, v8, 9, 0x7c00
	v_cndmask_b32_e64 v2, 0x7c00, v2, s0
	v_cmp_ne_u32_e64 s0, v10, v17
	v_cvt_f64_f32_e32 v[7:8], v7
	v_lshrrev_b32_e32 v17, 8, v6
	v_fma_f16 v3, v63, v19, -v3
	v_cndmask_b32_e64 v10, 0, 1, s0
	v_cmp_ne_u32_e64 s0, 0, v5
	v_cvt_f32_f16_e32 v3, v3
	v_or_b32_e32 v10, v14, v10
	v_cndmask_b32_e64 v5, 0, 1, s0
	v_cmp_eq_u32_e64 s0, 0x40f, v15
	v_sub_nc_u32_e32 v15, 0x3f1, v22
	v_lshl_or_b32 v14, v18, 12, v16
	v_and_or_b32 v5, 0xffe, v17, v5
	v_cndmask_b32_e64 v2, v2, v21, s0
	v_cmp_gt_i32_e64 s0, 1, v18
	v_med3_i32 v15, v15, 0, 13
	v_or_b32_e32 v17, 0x1000, v5
	v_and_or_b32 v2, 0x8000, v9, v2
	v_cndmask_b32_e64 v10, v14, v10, s0
	v_mul_f64 v[7:8], v[7:8], s[4:5]
	v_lshrrev_b32_e32 v9, v15, v17
	v_lshl_or_b32 v0, v2, 16, v0
	v_and_b32_e32 v14, 7, v10
	v_lshrrev_b32_e32 v10, 2, v10
	v_lshlrev_b32_e32 v2, v15, v9
	v_cmp_lt_i32_e64 s0, 5, v14
	v_cmp_eq_u32_e64 s1, 3, v14
	v_add_nc_u32_e32 v14, 0xfffffc10, v22
	v_cmp_ne_u32_e64 s2, v2, v17
	s_or_b32 s0, s1, s0
	v_lshl_or_b32 v17, v14, 12, v5
	v_cndmask_b32_e64 v2, 0, 1, s2
	v_add_co_ci_u32_e64 v15, s0, 0, v10, s0
	v_cmp_ne_u32_e64 s0, 0, v16
	v_or_b32_e32 v2, v9, v2
	v_cvt_f64_f32_e32 v[9:10], v3
	v_and_or_b32 v7, 0x1ff, v8, v7
	v_cndmask_b32_e64 v16, 0, 1, s0
	v_cmp_gt_i32_e64 s0, 1, v14
	v_lshrrev_b32_e32 v20, 8, v8
	v_bfe_u32 v21, v8, 20, 11
	v_lshl_or_b32 v16, v16, 9, 0x7c00
	v_cndmask_b32_e64 v17, v17, v2, s0
	v_cmp_gt_i32_e64 s0, 31, v18
	ds_read2st64_b32 v[2:3], v53 offset0:88 offset1:96
	v_and_b32_e32 v19, 7, v17
	v_cndmask_b32_e64 v15, 0x7c00, v15, s0
	v_cmp_ne_u32_e64 s0, 0, v7
	v_lshrrev_b32_e32 v17, 2, v17
	v_cmp_eq_u32_e64 s1, 3, v19
	v_cndmask_b32_e64 v7, 0, 1, s0
	v_cmp_eq_u32_e64 s0, 0x40f, v18
	v_mul_f64 v[9:10], v[9:10], s[4:5]
	v_and_or_b32 v7, 0xffe, v20, v7
	v_cndmask_b32_e64 v15, v15, v16, s0
	v_cmp_lt_i32_e64 s0, 5, v19
	v_sub_nc_u32_e32 v16, 0x3f1, v21
	v_add_nc_u32_e32 v21, 0xfffffc10, v21
	v_or_b32_e32 v18, 0x1000, v7
	s_waitcnt lgkmcnt(0)
	v_lshrrev_b32_e32 v19, 16, v2
	s_or_b32 s0, s1, s0
	v_med3_i32 v16, v16, 0, 13
	v_add_co_ci_u32_e64 v17, s0, 0, v17, s0
	v_cmp_ne_u32_e64 s0, 0, v5
	v_mul_f16_sdwa v22, v62, v19 dst_sel:DWORD dst_unused:UNUSED_PAD src0_sel:WORD_1 src1_sel:DWORD
	v_lshrrev_b32_e32 v20, v16, v18
	v_and_or_b32 v11, 0x8000, v11, v15
	v_cndmask_b32_e64 v5, 0, 1, s0
	v_cmp_gt_i32_e64 s0, 31, v14
	v_lshlrev_b32_e32 v15, v16, v20
	v_fmac_f16_e32 v22, v62, v2
	v_and_or_b32 v9, 0x1ff, v10, v9
	v_lshl_or_b32 v5, v5, 9, 0x7c00
	v_cndmask_b32_e64 v17, 0x7c00, v17, s0
	v_cmp_eq_u32_e64 s0, 0x40f, v14
	v_lshrrev_b32_e32 v16, 16, v6
	v_mul_f16_sdwa v2, v62, v2 dst_sel:DWORD dst_unused:UNUSED_PAD src0_sel:WORD_1 src1_sel:DWORD
	v_cndmask_b32_e64 v14, v17, v5, s0
	v_cmp_ne_u32_e64 s0, v15, v18
	v_cvt_f32_f16_e32 v5, v22
	v_lshrrev_b32_e32 v17, 8, v10
	v_bfe_u32 v18, v10, 20, 11
	v_and_or_b32 v14, 0x8000, v16, v14
	v_cndmask_b32_e64 v15, 0, 1, s0
	v_cmp_ne_u32_e64 s0, 0, v9
	v_cvt_f64_f32_e32 v[5:6], v5
	v_lshl_or_b32 v16, v21, 12, v7
	v_fma_f16 v2, v62, v19, -v2
	v_or_b32_e32 v15, v20, v15
	v_cndmask_b32_e64 v9, 0, 1, s0
	v_cmp_gt_i32_e64 s0, 1, v21
	v_and_b32_e32 v20, 0xffff, v11
	v_cvt_f32_f16_e32 v2, v2
	v_add_nc_u32_e32 v19, 0xfffffc10, v18
	v_and_or_b32 v9, 0xffe, v17, v9
	v_sub_nc_u32_e32 v17, 0x3f1, v18
	v_cndmask_b32_e64 v22, v16, v15, s0
	v_add_co_u32 v11, s0, v12, s6
	v_or_b32_e32 v23, 0x1000, v9
	v_med3_i32 v17, v17, 0, 13
	v_add_co_ci_u32_e64 v12, s0, s7, v13, s0
	v_and_b32_e32 v24, 7, v22
	v_lshl_or_b32 v20, v14, 16, v20
	v_lshrrev_b32_e32 v25, v17, v23
	v_add_co_u32 v15, s0, v11, s8
	v_mul_f64 v[13:14], v[5:6], s[4:5]
	v_add_co_ci_u32_e64 v16, s0, s9, v12, s0
	v_lshlrev_b32_e32 v5, v17, v25
	v_cmp_lt_i32_e64 s0, 5, v24
	v_cmp_eq_u32_e64 s1, 3, v24
	v_lshrrev_b32_e32 v6, 2, v22
	v_cvt_f64_f32_e32 v[17:18], v2
	v_cmp_ne_u32_e64 s2, v5, v23
	v_lshl_or_b32 v2, v19, 12, v9
	s_or_b32 s0, s1, s0
	v_add_co_ci_u32_e64 v22, s0, 0, v6, s0
	v_cndmask_b32_e64 v5, 0, 1, s2
	v_cmp_ne_u32_e64 s0, 0, v7
	v_or_b32_e32 v23, v25, v5
	v_cndmask_b32_e64 v7, 0, 1, s0
	v_cmp_gt_i32_e64 s0, 1, v19
	v_and_or_b32 v13, 0x1ff, v14, v13
	ds_read2st64_b32 v[5:6], v53 offset0:124 offset1:132
	v_lshrrev_b32_e32 v24, 8, v14
	v_lshl_or_b32 v7, v7, 9, 0x7c00
	v_cndmask_b32_e64 v2, v2, v23, s0
	v_cmp_gt_i32_e64 s0, 31, v21
	v_bfe_u32 v25, v14, 20, 11
	global_store_dword v[11:12], v0, off
	global_store_dword v[15:16], v20, off
	v_lshrrev_b32_e32 v14, 16, v14
	v_and_b32_e32 v23, 7, v2
	v_cndmask_b32_e64 v22, 0x7c00, v22, s0
	v_cmp_ne_u32_e64 s0, 0, v13
	v_lshrrev_b32_e32 v2, 2, v2
	v_cmp_eq_u32_e64 s1, 3, v23
	v_cndmask_b32_e64 v13, 0, 1, s0
	v_cmp_eq_u32_e64 s0, 0x40f, v21
	v_and_or_b32 v13, 0xffe, v24, v13
	v_cndmask_b32_e64 v21, v22, v7, s0
	v_cmp_lt_i32_e64 s0, 5, v23
	v_lshrrev_b32_e32 v22, 16, v8
	v_mul_f64 v[7:8], v[17:18], s[4:5]
	v_sub_nc_u32_e32 v24, 0x3f1, v25
	v_or_b32_e32 v18, 0x1000, v13
	s_or_b32 s0, s1, s0
	s_waitcnt lgkmcnt(0)
	v_lshrrev_b32_e32 v17, 16, v5
	v_add_co_ci_u32_e64 v2, s0, 0, v2, s0
	v_med3_i32 v23, v24, 0, 13
	v_cmp_ne_u32_e64 s0, 0, v9
	v_mul_f16_sdwa v24, v61, v17 dst_sel:DWORD dst_unused:UNUSED_PAD src0_sel:WORD_1 src1_sel:DWORD
	v_and_or_b32 v21, 0x8000, v22, v21
	v_lshrrev_b32_e32 v26, v23, v18
	v_cndmask_b32_e64 v9, 0, 1, s0
	v_cmp_gt_i32_e64 s0, 31, v19
	v_fmac_f16_e32 v24, v61, v5
	v_and_b32_e32 v21, 0xffff, v21
	v_lshlrev_b32_e32 v22, v23, v26
	v_lshl_or_b32 v9, v9, 9, 0x7c00
	v_cndmask_b32_e64 v2, 0x7c00, v2, s0
	v_cmp_eq_u32_e64 s0, 0x40f, v19
	v_cvt_f32_f16_e32 v23, v24
	v_and_or_b32 v7, 0x1ff, v8, v7
	v_lshrrev_b32_e32 v19, 16, v10
	v_bfe_u32 v24, v8, 20, 11
	v_cndmask_b32_e64 v2, v2, v9, s0
	v_cmp_ne_u32_e64 s0, v22, v18
	v_cvt_f64_f32_e32 v[9:10], v23
	v_add_nc_u32_e32 v22, 0xfffffc10, v25
	v_lshrrev_b32_e32 v23, 8, v8
	v_and_or_b32 v2, 0x8000, v19, v2
	v_cndmask_b32_e64 v18, 0, 1, s0
	v_cmp_ne_u32_e64 s0, 0, v7
	v_lshl_or_b32 v19, v22, 12, v13
	v_mul_f16_sdwa v5, v61, v5 dst_sel:DWORD dst_unused:UNUSED_PAD src0_sel:WORD_1 src1_sel:DWORD
	v_lshl_or_b32 v0, v2, 16, v21
	v_or_b32_e32 v18, v26, v18
	v_cndmask_b32_e64 v7, 0, 1, s0
	v_cmp_gt_i32_e64 s0, 1, v22
	v_fma_f16 v5, v61, v17, -v5
	v_add_nc_u32_e32 v17, 0xfffffc10, v24
	v_and_or_b32 v7, 0xffe, v23, v7
	v_sub_nc_u32_e32 v23, 0x3f1, v24
	v_cndmask_b32_e64 v18, v19, v18, s0
	v_add_co_u32 v11, s0, v15, s6
	v_or_b32_e32 v19, 0x1000, v7
	v_med3_i32 v23, v23, 0, 13
	v_and_b32_e32 v2, 7, v18
	v_mul_f64 v[9:10], v[9:10], s[4:5]
	v_add_co_ci_u32_e64 v12, s0, s7, v16, s0
	v_lshrrev_b32_e32 v20, v23, v19
	v_cmp_lt_i32_e64 s0, 5, v2
	v_cmp_eq_u32_e64 s1, 3, v2
	v_lshrrev_b32_e32 v2, 2, v18
	v_cvt_f32_f16_e32 v5, v5
	v_lshlrev_b32_e32 v15, v23, v20
	global_store_dword v[11:12], v0, off
	s_or_b32 s0, s1, s0
	v_add_co_ci_u32_e64 v2, s0, 0, v2, s0
	v_cmp_ne_u32_e64 s2, v15, v19
	v_cmp_ne_u32_e64 s0, 0, v13
	v_lshl_or_b32 v19, v17, 12, v7
	v_cndmask_b32_e64 v15, 0, 1, s2
	v_cndmask_b32_e64 v13, 0, 1, s0
	v_cmp_gt_i32_e64 s0, 1, v17
	v_and_or_b32 v9, 0x1ff, v10, v9
	v_or_b32_e32 v18, v20, v15
	v_cvt_f64_f32_e32 v[15:16], v5
	v_lshl_or_b32 v13, v13, 9, 0x7c00
	v_bfe_u32 v20, v10, 20, 11
	v_cndmask_b32_e64 v5, v19, v18, s0
	v_cmp_gt_i32_e64 s0, 31, v22
	v_lshrrev_b32_e32 v19, 8, v10
	v_lshrrev_b32_e32 v10, 16, v10
	v_and_b32_e32 v18, 7, v5
	v_cndmask_b32_e64 v2, 0x7c00, v2, s0
	v_cmp_ne_u32_e64 s0, 0, v9
	v_lshrrev_b32_e32 v5, 2, v5
	v_cmp_eq_u32_e64 s1, 3, v18
	v_cndmask_b32_e64 v9, 0, 1, s0
	v_cmp_eq_u32_e64 s0, 0x40f, v22
	v_and_or_b32 v9, 0xffe, v19, v9
	v_cndmask_b32_e64 v2, v2, v13, s0
	v_cmp_lt_i32_e64 s0, 5, v18
	v_mul_f64 v[15:16], v[15:16], s[4:5]
	v_sub_nc_u32_e32 v13, 0x3f1, v20
	v_or_b32_e32 v19, 0x1000, v9
	v_lshrrev_b32_e32 v18, 16, v1
	s_or_b32 s0, s1, s0
	v_and_or_b32 v2, 0x8000, v14, v2
	v_add_co_ci_u32_e64 v5, s0, 0, v5, s0
	v_med3_i32 v13, v13, 0, 13
	v_cmp_ne_u32_e64 s0, 0, v7
	v_mul_f16_sdwa v21, v60, v18 dst_sel:DWORD dst_unused:UNUSED_PAD src0_sel:WORD_1 src1_sel:DWORD
	v_and_b32_e32 v2, 0xffff, v2
	v_lshrrev_b32_e32 v22, v13, v19
	v_cndmask_b32_e64 v7, 0, 1, s0
	v_cmp_gt_i32_e64 s0, 31, v17
	v_fmac_f16_e32 v21, v60, v1
	v_mul_f16_sdwa v1, v60, v1 dst_sel:DWORD dst_unused:UNUSED_PAD src0_sel:WORD_1 src1_sel:DWORD
	v_lshlrev_b32_e32 v13, v13, v22
	v_lshl_or_b32 v7, v7, 9, 0x7c00
	v_cndmask_b32_e64 v5, 0x7c00, v5, s0
	v_cmp_eq_u32_e64 s0, 0x40f, v17
	v_and_or_b32 v15, 0x1ff, v16, v15
	v_cvt_f32_f16_e32 v21, v21
	v_lshrrev_b32_e32 v17, 16, v8
	v_fma_f16 v1, v60, v18, -v1
	v_cndmask_b32_e64 v5, v5, v7, s0
	v_cmp_ne_u32_e64 s0, v13, v19
	v_add_nc_u32_e32 v19, 0xfffffc10, v20
	v_cvt_f64_f32_e32 v[7:8], v21
	v_bfe_u32 v20, v16, 20, 11
	v_and_or_b32 v5, 0x8000, v17, v5
	v_cndmask_b32_e64 v13, 0, 1, s0
	v_cmp_ne_u32_e64 s0, 0, v15
	v_lshl_or_b32 v14, v19, 12, v9
	v_lshrrev_b32_e32 v17, 8, v16
	v_lshl_or_b32 v0, v5, 16, v2
	v_or_b32_e32 v13, v22, v13
	v_cndmask_b32_e64 v15, 0, 1, s0
	v_cmp_gt_i32_e64 s0, 1, v19
	v_lshrrev_b32_e32 v18, 16, v4
	v_lshrrev_b32_e32 v16, 16, v16
	v_cndmask_b32_e64 v13, v14, v13, s0
	v_and_or_b32 v14, 0xffe, v17, v15
	v_sub_nc_u32_e32 v15, 0x3f1, v20
	v_add_co_u32 v11, s0, v11, s6
	v_and_b32_e32 v2, 7, v13
	v_or_b32_e32 v5, 0x1000, v14
	v_med3_i32 v15, v15, 0, 13
	v_add_co_ci_u32_e64 v12, s0, s7, v12, s0
	v_cmp_lt_i32_e64 s0, 5, v2
	v_cmp_eq_u32_e64 s1, 3, v2
	v_lshrrev_b32_e32 v17, v15, v5
	v_mul_f64 v[7:8], v[7:8], s[4:5]
	global_store_dword v[11:12], v0, off
	v_lshrrev_b32_e32 v0, 2, v13
	s_or_b32 s0, s1, s0
	v_lshlrev_b32_e32 v2, v15, v17
	v_add_co_ci_u32_e64 v13, s0, 0, v0, s0
	v_cmp_ne_u32_e64 s0, v2, v5
	v_cvt_f32_f16_e32 v0, v1
	v_add_nc_u32_e32 v5, 0xfffffc10, v20
	v_mul_f16_sdwa v20, v59, v18 dst_sel:DWORD dst_unused:UNUSED_PAD src0_sel:WORD_1 src1_sel:DWORD
	v_cndmask_b32_e64 v2, 0, 1, s0
	v_cmp_ne_u32_e64 s0, 0, v9
	v_cvt_f64_f32_e32 v[0:1], v0
	v_lshl_or_b32 v15, v5, 12, v14
	v_fmac_f16_e32 v20, v59, v4
	v_or_b32_e32 v2, v17, v2
	v_cndmask_b32_e64 v9, 0, 1, s0
	v_cmp_gt_i32_e64 s0, 31, v19
	v_and_or_b32 v7, 0x1ff, v8, v7
	v_bfe_u32 v17, v8, 20, 11
	v_mul_f16_sdwa v4, v59, v4 dst_sel:DWORD dst_unused:UNUSED_PAD src0_sel:WORD_1 src1_sel:DWORD
	v_lshl_or_b32 v9, v9, 9, 0x7c00
	v_cndmask_b32_e64 v13, 0x7c00, v13, s0
	v_cmp_gt_i32_e64 s0, 1, v5
	v_cndmask_b32_e64 v2, v15, v2, s0
	v_cmp_ne_u32_e64 s0, 0, v7
	v_lshrrev_b32_e32 v15, 8, v8
	v_lshrrev_b32_e32 v8, 16, v8
	v_cndmask_b32_e64 v7, 0, 1, s0
	v_cmp_eq_u32_e64 s0, 0x40f, v19
	v_mul_f64 v[0:1], v[0:1], s[4:5]
	v_and_or_b32 v7, 0xffe, v15, v7
	v_cndmask_b32_e64 v9, v13, v9, s0
	v_and_b32_e32 v13, 7, v2
	v_sub_nc_u32_e32 v15, 0x3f1, v17
	v_lshrrev_b32_e32 v2, 2, v2
	v_or_b32_e32 v19, 0x1000, v7
	v_add_nc_u32_e32 v17, 0xfffffc10, v17
	v_cmp_lt_i32_e64 s0, 5, v13
	v_cmp_eq_u32_e64 s1, 3, v13
	v_med3_i32 v15, v15, 0, 13
	v_and_or_b32 v13, 0x8000, v10, v9
	v_cvt_f32_f16_e32 v10, v20
	s_or_b32 s0, s1, s0
	v_lshrrev_b32_e32 v21, v15, v19
	v_add_co_ci_u32_e64 v2, s0, 0, v2, s0
	v_cmp_ne_u32_e64 s0, 0, v14
	v_and_b32_e32 v13, 0xffff, v13
	v_lshlrev_b32_e32 v14, v15, v21
	v_and_or_b32 v0, 0x1ff, v1, v0
	v_cndmask_b32_e64 v9, 0, 1, s0
	v_cmp_gt_i32_e64 s0, 31, v5
	v_lshl_or_b32 v15, v9, 9, 0x7c00
	v_cndmask_b32_e64 v2, 0x7c00, v2, s0
	v_cmp_ne_u32_e64 s0, v14, v19
	v_cvt_f64_f32_e32 v[9:10], v10
	v_bfe_u32 v19, v1, 20, 11
	v_cndmask_b32_e64 v14, 0, 1, s0
	v_cmp_eq_u32_e64 s0, 0x40f, v5
	v_or_b32_e32 v5, v21, v14
	v_cndmask_b32_e64 v2, v2, v15, s0
	v_cmp_ne_u32_e64 s0, 0, v0
	v_lshl_or_b32 v14, v17, 12, v7
	v_lshrrev_b32_e32 v15, 8, v1
	v_and_or_b32 v2, 0x8000, v16, v2
	v_cndmask_b32_e64 v0, 0, 1, s0
	v_cmp_gt_i32_e64 s0, 1, v17
	v_lshl_or_b32 v13, v2, 16, v13
	v_and_or_b32 v0, 0xffe, v15, v0
	v_cndmask_b32_e64 v14, v14, v5, s0
	v_sub_nc_u32_e32 v5, 0x3f1, v19
	v_mul_f64 v[9:10], v[9:10], s[4:5]
	v_or_b32_e32 v16, 0x1000, v0
	v_and_b32_e32 v15, 7, v14
	v_med3_i32 v20, v5, 0, 13
	v_cmp_lt_i32_e64 s0, 5, v15
	v_lshrrev_b32_e32 v2, v20, v16
	v_cmp_eq_u32_e64 s1, 3, v15
	v_fma_f16 v15, v59, v18, -v4
	v_add_co_u32 v4, s2, v11, s6
	v_lshrrev_b32_e32 v11, 2, v14
	v_add_co_ci_u32_e64 v5, s2, s7, v12, s2
	v_lshlrev_b32_e32 v12, v20, v2
	s_or_b32 s0, s1, s0
	v_cvt_f32_f16_e32 v14, v15
	v_add_co_ci_u32_e64 v15, s0, 0, v11, s0
	v_cmp_ne_u32_e64 s0, v12, v16
	v_and_or_b32 v9, 0x1ff, v10, v9
	v_cvt_f64_f32_e32 v[11:12], v14
	v_add_nc_u32_e32 v14, 0xfffffc10, v19
	v_lshrrev_b32_e32 v18, 8, v10
	v_cndmask_b32_e64 v16, 0, 1, s0
	v_cmp_gt_i32_e64 s0, 31, v17
	v_bfe_u32 v19, v10, 20, 11
	v_lshrrev_b32_e32 v10, 16, v10
	v_or_b32_e32 v2, v2, v16
	v_cndmask_b32_e64 v15, 0x7c00, v15, s0
	v_cmp_ne_u32_e64 s0, 0, v9
	v_lshl_or_b32 v16, v14, 12, v0
	v_cndmask_b32_e64 v9, 0, 1, s0
	v_cmp_ne_u32_e64 s0, 0, v7
	v_and_or_b32 v9, 0xffe, v18, v9
	v_cndmask_b32_e64 v7, 0, 1, s0
	v_cmp_gt_i32_e64 s0, 1, v14
	v_lshrrev_b32_e32 v18, 16, v3
	v_mul_f64 v[11:12], v[11:12], s[4:5]
	v_or_b32_e32 v21, 0x1000, v9
	v_lshl_or_b32 v7, v7, 9, 0x7c00
	v_cndmask_b32_e64 v2, v16, v2, s0
	v_sub_nc_u32_e32 v16, 0x3f1, v19
	v_cmp_eq_u32_e64 s0, 0x40f, v17
	v_mul_f16_sdwa v22, v58, v18 dst_sel:DWORD dst_unused:UNUSED_PAD src0_sel:WORD_1 src1_sel:DWORD
	v_add_nc_u32_e32 v19, 0xfffffc10, v19
	v_and_b32_e32 v20, 7, v2
	v_med3_i32 v16, v16, 0, 13
	v_cndmask_b32_e64 v7, v15, v7, s0
	v_lshrrev_b32_e32 v2, 2, v2
	v_fmac_f16_e32 v22, v58, v3
	v_cmp_lt_i32_e64 s0, 5, v20
	v_lshrrev_b32_e32 v15, v16, v21
	v_cmp_eq_u32_e64 s1, 3, v20
	v_and_or_b32 v17, 0x8000, v8, v7
	v_cvt_f32_f16_e32 v8, v22
	v_mul_f16_sdwa v3, v58, v3 dst_sel:DWORD dst_unused:UNUSED_PAD src0_sel:WORD_1 src1_sel:DWORD
	v_lshlrev_b32_e32 v7, v16, v15
	s_or_b32 s0, s1, s0
	v_add_co_ci_u32_e64 v2, s0, 0, v2, s0
	v_cmp_ne_u32_e64 s0, v7, v21
	v_cvt_f64_f32_e32 v[7:8], v8
	v_and_or_b32 v11, 0x1ff, v12, v11
	v_bfe_u32 v20, v12, 20, 11
	v_fma_f16 v3, v58, v18, -v3
	v_cndmask_b32_e64 v16, 0, 1, s0
	v_cmp_ne_u32_e64 s0, 0, v0
	v_or_b32_e32 v15, v15, v16
	v_cndmask_b32_e64 v0, 0, 1, s0
	v_cmp_gt_i32_e64 s0, 31, v14
	v_lshl_or_b32 v16, v19, 12, v9
	v_lshl_or_b32 v0, v0, 9, 0x7c00
	v_cndmask_b32_e64 v2, 0x7c00, v2, s0
	v_cmp_gt_i32_e64 s0, 1, v19
	v_cndmask_b32_e64 v15, v16, v15, s0
	v_cmp_ne_u32_e64 s0, 0, v11
	v_lshrrev_b32_e32 v16, 8, v12
	v_and_b32_e32 v21, 7, v15
	v_cndmask_b32_e64 v11, 0, 1, s0
	v_cmp_eq_u32_e64 s0, 0x40f, v14
	v_sub_nc_u32_e32 v14, 0x3f1, v20
	v_cmp_eq_u32_e64 s1, 3, v21
	v_and_or_b32 v11, 0xffe, v16, v11
	v_cndmask_b32_e64 v2, v2, v0, s0
	v_cmp_lt_i32_e64 s0, 5, v21
	v_lshrrev_b32_e32 v16, 16, v1
	v_mul_f64 v[0:1], v[7:8], s[4:5]
	v_med3_i32 v8, v14, 0, 13
	v_lshrrev_b32_e32 v14, 2, v15
	v_or_b32_e32 v7, 0x1000, v11
	s_or_b32 s0, s1, s0
	v_and_or_b32 v2, 0x8000, v16, v2
	v_and_b32_e32 v15, 0xffff, v17
	v_add_co_ci_u32_e64 v14, s0, 0, v14, s0
	v_lshrrev_b32_e32 v16, v8, v7
	v_cmp_ne_u32_e64 s0, 0, v9
	v_lshl_or_b32 v15, v2, 16, v15
	v_lshlrev_b32_e32 v2, v8, v16
	v_cndmask_b32_e64 v9, 0, 1, s0
	v_cmp_gt_i32_e64 s0, 31, v19
	v_lshl_or_b32 v9, v9, 9, 0x7c00
	v_cndmask_b32_e64 v8, 0x7c00, v14, s0
	v_cmp_ne_u32_e64 s0, v2, v7
	v_and_or_b32 v0, 0x1ff, v1, v0
	v_add_nc_u32_e32 v14, 0xfffffc10, v20
	v_bfe_u32 v17, v1, 20, 11
	v_cndmask_b32_e64 v2, 0, 1, s0
	v_cmp_eq_u32_e64 s0, 0x40f, v19
	v_or_b32_e32 v7, v16, v2
	v_cndmask_b32_e64 v9, v8, v9, s0
	v_cmp_ne_u32_e64 s0, 0, v0
	v_cvt_f32_f16_e32 v2, v3
	v_lshl_or_b32 v8, v14, 12, v11
	v_lshrrev_b32_e32 v16, 8, v1
	v_and_or_b32 v23, 0x8000, v10, v9
	v_cndmask_b32_e64 v0, 0, 1, s0
	v_cmp_gt_i32_e64 s0, 1, v14
	v_cvt_f64_f32_e32 v[2:3], v2
	v_lshrrev_b32_e32 v1, 16, v1
	v_and_or_b32 v0, 0xffe, v16, v0
	v_cndmask_b32_e64 v18, v8, v7, s0
	v_sub_nc_u32_e32 v7, 0x3f1, v17
	v_lshrrev_b32_e32 v16, 16, v6
	v_add_nc_u32_e32 v17, 0xfffffc10, v17
	v_or_b32_e32 v20, 0x1000, v0
	v_and_b32_e32 v19, 7, v18
	v_med3_i32 v21, v7, 0, 13
	v_mul_f16_sdwa v22, v57, v16 dst_sel:DWORD dst_unused:UNUSED_PAD src0_sel:WORD_1 src1_sel:DWORD
	v_add_co_u32 v7, s0, v4, s8
	v_add_co_ci_u32_e64 v8, s0, s9, v5, s0
	v_lshrrev_b32_e32 v24, v21, v20
	v_fmac_f16_e32 v22, v57, v6
	v_cmp_lt_i32_e64 s0, 5, v19
	v_cmp_eq_u32_e64 s1, 3, v19
	v_lshrrev_b32_e32 v9, 2, v18
	v_lshlrev_b32_e32 v18, v21, v24
	v_cvt_f32_f16_e32 v10, v22
	v_mul_f64 v[2:3], v[2:3], s[4:5]
	s_or_b32 s0, s1, s0
	v_mul_f16_sdwa v6, v57, v6 dst_sel:DWORD dst_unused:UNUSED_PAD src0_sel:WORD_1 src1_sel:DWORD
	v_add_co_ci_u32_e64 v19, s0, 0, v9, s0
	v_cmp_ne_u32_e64 s0, v18, v20
	v_cvt_f64_f32_e32 v[9:10], v10
	v_lshl_or_b32 v20, v17, 12, v0
	v_fma_f16 v6, v57, v16, -v6
	v_cndmask_b32_e64 v18, 0, 1, s0
	v_cmp_ne_u32_e64 s0, 0, v11
	v_cvt_f32_f16_e32 v6, v6
	v_or_b32_e32 v18, v24, v18
	v_cndmask_b32_e64 v11, 0, 1, s0
	v_cmp_gt_i32_e64 s0, 31, v14
	v_lshl_or_b32 v11, v11, 9, 0x7c00
	v_cndmask_b32_e64 v16, 0x7c00, v19, s0
	v_cmp_gt_i32_e64 s0, 1, v17
	v_and_or_b32 v2, 0x1ff, v3, v2
	v_lshrrev_b32_e32 v19, 8, v3
	v_cndmask_b32_e64 v18, v20, v18, s0
	v_cmp_eq_u32_e64 s0, 0x40f, v14
	v_mul_f64 v[9:10], v[9:10], s[4:5]
	v_bfe_u32 v20, v3, 20, 11
	v_lshrrev_b32_e32 v3, 16, v3
	v_cndmask_b32_e64 v14, v16, v11, s0
	v_lshrrev_b32_e32 v16, 16, v12
	v_cvt_f64_f32_e32 v[11:12], v6
	v_cmp_ne_u32_e64 s0, 0, v2
	v_and_b32_e32 v6, 7, v18
	v_and_or_b32 v14, 0x8000, v16, v14
	v_and_b32_e32 v16, 0xffff, v23
	v_cndmask_b32_e64 v2, 0, 1, s0
	v_cmp_lt_i32_e64 s0, 5, v6
	v_cmp_eq_u32_e64 s1, 3, v6
	v_lshl_or_b32 v6, v14, 16, v16
	v_lshrrev_b32_e32 v14, 2, v18
	v_and_or_b32 v2, 0xffe, v19, v2
	v_sub_nc_u32_e32 v19, 0x3f1, v20
	s_or_b32 s0, s1, s0
	v_add_co_ci_u32_e64 v14, s0, 0, v14, s0
	v_or_b32_e32 v16, 0x1000, v2
	v_med3_i32 v18, v19, 0, 13
	v_cmp_ne_u32_e64 s0, 0, v0
	v_and_or_b32 v9, 0x1ff, v10, v9
	v_mul_f64 v[11:12], v[11:12], s[4:5]
	v_lshrrev_b32_e32 v21, 8, v10
	v_lshrrev_b32_e32 v19, v18, v16
	v_cndmask_b32_e64 v0, 0, 1, s0
	v_cmp_gt_i32_e64 s0, 31, v17
	v_bfe_u32 v22, v10, 20, 11
	v_lshrrev_b32_e32 v10, 16, v10
	v_lshlrev_b32_e32 v18, v18, v19
	v_lshl_or_b32 v0, v0, 9, 0x7c00
	v_cndmask_b32_e64 v14, 0x7c00, v14, s0
	v_cmp_ne_u32_e64 s0, 0, v9
	v_cndmask_b32_e64 v9, 0, 1, s0
	v_cmp_ne_u32_e64 s0, v18, v16
	v_add_nc_u32_e32 v18, 0xfffffc10, v20
	v_sub_nc_u32_e32 v20, 0x3f1, v22
	v_and_or_b32 v9, 0xffe, v21, v9
	v_cndmask_b32_e64 v16, 0, 1, s0
	v_cmp_eq_u32_e64 s0, 0x40f, v17
	v_and_or_b32 v11, 0x1ff, v12, v11
	v_bfe_u32 v21, v12, 20, 11
	v_or_b32_e32 v17, 0x1000, v9
	v_cndmask_b32_e64 v0, v14, v0, s0
	v_or_b32_e32 v14, v19, v16
	v_lshl_or_b32 v16, v18, 12, v2
	v_med3_i32 v19, v20, 0, 13
	v_cmp_gt_i32_e64 s0, 1, v18
	v_lshrrev_b32_e32 v20, 8, v12
	v_and_or_b32 v0, 0x8000, v1, v0
	v_cndmask_b32_e64 v14, v16, v14, s0
	v_lshrrev_b32_e32 v16, v19, v17
	v_cmp_ne_u32_e64 s0, 0, v11
	v_and_b32_e32 v0, 0xffff, v0
	v_and_b32_e32 v23, 7, v14
	v_lshlrev_b32_e32 v19, v19, v16
	v_cndmask_b32_e64 v11, 0, 1, s0
	v_lshrrev_b32_e32 v14, 2, v14
	v_cmp_lt_i32_e64 s0, 5, v23
	v_cmp_ne_u32_e64 s1, v19, v17
	v_and_or_b32 v1, 0xffe, v20, v11
	v_sub_nc_u32_e32 v11, 0x3f1, v21
	v_add_nc_u32_e32 v20, 0xfffffc10, v22
	v_cndmask_b32_e64 v17, 0, 1, s1
	v_cmp_eq_u32_e64 s1, 3, v23
	v_or_b32_e32 v19, 0x1000, v1
	v_med3_i32 v11, v11, 0, 13
	v_lshl_or_b32 v22, v20, 12, v9
	v_or_b32_e32 v16, v16, v17
	s_or_b32 s0, s1, s0
	v_add_co_ci_u32_e64 v14, s0, 0, v14, s0
	v_lshrrev_b32_e32 v17, v11, v19
	v_cmp_gt_i32_e64 s0, 1, v20
	v_lshlrev_b32_e32 v11, v11, v17
	v_cndmask_b32_e64 v16, v22, v16, s0
	v_cmp_ne_u32_e64 s0, 0, v2
	v_cndmask_b32_e64 v2, 0, 1, s0
	v_cmp_ne_u32_e64 s0, v11, v19
	v_add_nc_u32_e32 v19, 0xfffffc10, v21
	v_and_b32_e32 v21, 7, v16
	v_lshl_or_b32 v2, v2, 9, 0x7c00
	v_cndmask_b32_e64 v11, 0, 1, s0
	v_cmp_gt_i32_e64 s0, 31, v18
	v_cmp_gt_i32_e64 s2, 1, v19
	v_cmp_eq_u32_e64 s1, 3, v21
	v_or_b32_e32 v11, v17, v11
	v_lshl_or_b32 v17, v19, 12, v1
	v_cndmask_b32_e64 v14, 0x7c00, v14, s0
	v_cmp_lt_i32_e64 s0, 5, v21
	v_cndmask_b32_e64 v11, v17, v11, s2
	v_cmp_eq_u32_e64 s2, 0x40f, v18
	s_or_b32 s0, s1, s0
	v_cndmask_b32_e64 v2, v14, v2, s2
	v_lshrrev_b32_e32 v14, 2, v16
	v_and_b32_e32 v16, 7, v11
	v_lshrrev_b32_e32 v11, 2, v11
	v_cmp_gt_i32_e64 s2, 31, v20
	v_add_co_ci_u32_e64 v14, s0, 0, v14, s0
	v_cmp_ne_u32_e64 s0, 0, v9
	v_cmp_eq_u32_e64 s1, 3, v16
	v_cndmask_b32_e64 v14, 0x7c00, v14, s2
	v_cndmask_b32_e64 v9, 0, 1, s0
	v_cmp_lt_i32_e64 s0, 5, v16
	v_lshl_or_b32 v9, v9, 9, 0x7c00
	s_or_b32 s0, s1, s0
	v_add_co_ci_u32_e64 v11, s0, 0, v11, s0
	v_cmp_ne_u32_e64 s0, 0, v1
	v_cndmask_b32_e64 v1, 0, 1, s0
	v_cmp_eq_u32_e64 s0, 0x40f, v20
	v_lshl_or_b32 v1, v1, 9, 0x7c00
	v_cndmask_b32_e64 v9, v14, v9, s0
	v_cmp_gt_i32_e64 s0, 31, v19
	v_and_or_b32 v14, 0x8000, v3, v2
	v_and_or_b32 v9, 0x8000, v10, v9
	v_cndmask_b32_e64 v11, 0x7c00, v11, s0
	v_cmp_eq_u32_e64 s0, 0x40f, v19
	v_lshrrev_b32_e32 v10, 16, v12
	v_cndmask_b32_e64 v1, v11, v1, s0
	v_add_co_u32 v2, s0, v7, s6
	v_add_co_ci_u32_e64 v3, s0, s7, v8, s0
	v_lshl_or_b32 v11, v14, 16, v0
	v_and_or_b32 v0, 0x8000, v10, v1
	v_and_b32_e32 v1, 0xffff, v9
	v_add_co_u32 v9, s0, v2, s6
	v_add_co_ci_u32_e64 v10, s0, s7, v3, s0
	v_lshl_or_b32 v12, v0, 16, v1
	v_add_co_u32 v0, s0, v9, s6
	v_add_co_ci_u32_e64 v1, s0, s7, v10, s0
	global_store_dword v[4:5], v13, off
	global_store_dword v[7:8], v15, off
	;; [unrolled: 1-line block ×5, first 2 shown]
	s_and_b32 exec_lo, exec_lo, vcc_lo
	s_cbranch_execz .LBB0_39
; %bb.38:
	global_load_dword v4, v56, s[16:17]
	ds_read2st64_b32 v[2:3], v53 offset0:32 offset1:68
	s_waitcnt lgkmcnt(0)
	v_lshrrev_b32_e32 v5, 16, v2
	s_waitcnt vmcnt(0)
	v_mul_f16_sdwa v6, v5, v4 dst_sel:DWORD dst_unused:UNUSED_PAD src0_sel:DWORD src1_sel:WORD_1
	v_mul_f16_sdwa v7, v2, v4 dst_sel:DWORD dst_unused:UNUSED_PAD src0_sel:DWORD src1_sel:WORD_1
	v_fmac_f16_e32 v6, v2, v4
	v_fma_f16 v2, v4, v5, -v7
	v_cvt_f32_f16_e32 v4, v6
	v_cvt_f32_f16_e32 v2, v2
	v_cvt_f64_f32_e32 v[4:5], v4
	v_cvt_f64_f32_e32 v[6:7], v2
	v_mul_f64 v[4:5], v[4:5], s[4:5]
	v_mul_f64 v[6:7], v[6:7], s[4:5]
	v_and_or_b32 v2, 0x1ff, v5, v4
	v_and_or_b32 v6, 0x1ff, v7, v6
	v_lshrrev_b32_e32 v4, 8, v5
	v_bfe_u32 v8, v5, 20, 11
	v_lshrrev_b32_e32 v9, 8, v7
	v_cmp_ne_u32_e32 vcc_lo, 0, v2
	v_bfe_u32 v10, v7, 20, 11
	v_lshrrev_b32_e32 v5, 16, v5
	v_sub_nc_u32_e32 v11, 0x3f1, v8
	v_add_nc_u32_e32 v8, 0xfffffc10, v8
	v_cndmask_b32_e64 v2, 0, 1, vcc_lo
	v_cmp_ne_u32_e32 vcc_lo, 0, v6
	v_lshrrev_b32_e32 v7, 16, v7
	v_and_or_b32 v2, 0xffe, v4, v2
	v_cndmask_b32_e64 v6, 0, 1, vcc_lo
	v_sub_nc_u32_e32 v4, 0x3f1, v10
	v_add_nc_u32_e32 v10, 0xfffffc10, v10
	v_and_or_b32 v6, 0xffe, v9, v6
	v_med3_i32 v9, v11, 0, 13
	v_or_b32_e32 v11, 0x1000, v2
	v_med3_i32 v4, v4, 0, 13
	v_or_b32_e32 v12, 0x1000, v6
	v_lshrrev_b32_e32 v13, v9, v11
	v_lshrrev_b32_e32 v14, v4, v12
	v_lshlrev_b32_e32 v9, v9, v13
	v_lshlrev_b32_e32 v4, v4, v14
	v_cmp_ne_u32_e32 vcc_lo, v9, v11
	v_lshl_or_b32 v11, v8, 12, v2
	v_cndmask_b32_e64 v9, 0, 1, vcc_lo
	v_cmp_ne_u32_e32 vcc_lo, v4, v12
	v_lshl_or_b32 v12, v10, 12, v6
	v_or_b32_e32 v9, v13, v9
	v_cndmask_b32_e64 v4, 0, 1, vcc_lo
	v_cmp_gt_i32_e32 vcc_lo, 1, v8
	v_or_b32_e32 v4, v14, v4
	v_cndmask_b32_e32 v9, v11, v9, vcc_lo
	v_cmp_gt_i32_e32 vcc_lo, 1, v10
	v_and_b32_e32 v11, 7, v9
	v_cndmask_b32_e32 v4, v12, v4, vcc_lo
	v_cmp_ne_u32_e32 vcc_lo, 0, v2
	v_lshrrev_b32_e32 v9, 2, v9
	v_cmp_eq_u32_e64 s0, 3, v11
	v_and_b32_e32 v12, 7, v4
	v_cndmask_b32_e64 v2, 0, 1, vcc_lo
	v_cmp_ne_u32_e32 vcc_lo, 0, v6
	v_lshrrev_b32_e32 v4, 2, v4
	v_cmp_lt_i32_e64 s1, 5, v12
	v_cmp_eq_u32_e64 s2, 3, v12
	v_cndmask_b32_e64 v6, 0, 1, vcc_lo
	v_cmp_lt_i32_e32 vcc_lo, 5, v11
	v_lshl_or_b32 v2, v2, 9, 0x7c00
	v_lshl_or_b32 v6, v6, 9, 0x7c00
	s_or_b32 vcc_lo, s0, vcc_lo
	v_add_co_ci_u32_e32 v9, vcc_lo, 0, v9, vcc_lo
	s_or_b32 vcc_lo, s2, s1
	v_add_co_ci_u32_e32 v4, vcc_lo, 0, v4, vcc_lo
	v_cmp_gt_i32_e32 vcc_lo, 31, v8
	v_cndmask_b32_e32 v9, 0x7c00, v9, vcc_lo
	v_cmp_gt_i32_e32 vcc_lo, 31, v10
	v_cndmask_b32_e32 v4, 0x7c00, v4, vcc_lo
	v_cmp_eq_u32_e32 vcc_lo, 0x40f, v8
	v_cndmask_b32_e32 v2, v9, v2, vcc_lo
	v_cmp_eq_u32_e32 vcc_lo, 0x40f, v10
	v_and_or_b32 v2, 0x8000, v5, v2
	v_cndmask_b32_e32 v4, v4, v6, vcc_lo
	v_add_co_u32 v0, vcc_lo, v0, s8
	v_add_co_ci_u32_e32 v1, vcc_lo, s9, v1, vcc_lo
	v_and_or_b32 v4, 0x8000, v7, v4
	v_and_b32_e32 v2, 0xffff, v2
	v_lshl_or_b32 v2, v4, 16, v2
	v_add_co_u32 v4, vcc_lo, 0x4000, v54
	v_add_co_ci_u32_e32 v5, vcc_lo, 0, v55, vcc_lo
	global_store_dword v[0:1], v2, off
	global_load_dword v2, v[4:5], off offset:1024
	v_lshrrev_b32_e32 v4, 16, v3
	s_waitcnt vmcnt(0)
	v_mul_f16_sdwa v5, v4, v2 dst_sel:DWORD dst_unused:UNUSED_PAD src0_sel:DWORD src1_sel:WORD_1
	v_mul_f16_sdwa v6, v3, v2 dst_sel:DWORD dst_unused:UNUSED_PAD src0_sel:DWORD src1_sel:WORD_1
	v_fmac_f16_e32 v5, v3, v2
	v_fma_f16 v2, v2, v4, -v6
	v_cvt_f32_f16_e32 v3, v5
	v_cvt_f32_f16_e32 v4, v2
	v_cvt_f64_f32_e32 v[2:3], v3
	v_cvt_f64_f32_e32 v[4:5], v4
	v_mul_f64 v[2:3], v[2:3], s[4:5]
	v_mul_f64 v[4:5], v[4:5], s[4:5]
	v_and_or_b32 v2, 0x1ff, v3, v2
	v_and_or_b32 v4, 0x1ff, v5, v4
	v_lshrrev_b32_e32 v6, 8, v3
	v_bfe_u32 v7, v3, 20, 11
	v_lshrrev_b32_e32 v8, 8, v5
	v_cmp_ne_u32_e32 vcc_lo, 0, v2
	v_bfe_u32 v9, v5, 20, 11
	v_lshrrev_b32_e32 v3, 16, v3
	v_sub_nc_u32_e32 v10, 0x3f1, v7
	v_add_nc_u32_e32 v7, 0xfffffc10, v7
	v_cndmask_b32_e64 v2, 0, 1, vcc_lo
	v_cmp_ne_u32_e32 vcc_lo, 0, v4
	v_lshrrev_b32_e32 v5, 16, v5
	v_and_or_b32 v2, 0xffe, v6, v2
	v_cndmask_b32_e64 v4, 0, 1, vcc_lo
	v_sub_nc_u32_e32 v6, 0x3f1, v9
	v_add_nc_u32_e32 v9, 0xfffffc10, v9
	v_and_or_b32 v4, 0xffe, v8, v4
	v_med3_i32 v8, v10, 0, 13
	v_or_b32_e32 v10, 0x1000, v2
	v_med3_i32 v6, v6, 0, 13
	v_or_b32_e32 v11, 0x1000, v4
	v_lshrrev_b32_e32 v12, v8, v10
	v_lshrrev_b32_e32 v13, v6, v11
	v_lshlrev_b32_e32 v8, v8, v12
	v_lshlrev_b32_e32 v6, v6, v13
	v_cmp_ne_u32_e32 vcc_lo, v8, v10
	v_lshl_or_b32 v10, v7, 12, v2
	v_cndmask_b32_e64 v8, 0, 1, vcc_lo
	v_cmp_ne_u32_e32 vcc_lo, v6, v11
	v_lshl_or_b32 v11, v9, 12, v4
	v_or_b32_e32 v8, v12, v8
	v_cndmask_b32_e64 v6, 0, 1, vcc_lo
	v_cmp_gt_i32_e32 vcc_lo, 1, v7
	v_or_b32_e32 v6, v13, v6
	v_cndmask_b32_e32 v8, v10, v8, vcc_lo
	v_cmp_gt_i32_e32 vcc_lo, 1, v9
	v_and_b32_e32 v10, 7, v8
	v_cndmask_b32_e32 v6, v11, v6, vcc_lo
	v_cmp_ne_u32_e32 vcc_lo, 0, v2
	v_lshrrev_b32_e32 v8, 2, v8
	v_cmp_eq_u32_e64 s0, 3, v10
	v_and_b32_e32 v11, 7, v6
	v_cndmask_b32_e64 v2, 0, 1, vcc_lo
	v_cmp_ne_u32_e32 vcc_lo, 0, v4
	v_lshrrev_b32_e32 v6, 2, v6
	v_cmp_lt_i32_e64 s1, 5, v11
	v_cmp_eq_u32_e64 s2, 3, v11
	v_cndmask_b32_e64 v4, 0, 1, vcc_lo
	v_cmp_lt_i32_e32 vcc_lo, 5, v10
	v_lshl_or_b32 v2, v2, 9, 0x7c00
	v_lshl_or_b32 v4, v4, 9, 0x7c00
	s_or_b32 vcc_lo, s0, vcc_lo
	v_add_co_ci_u32_e32 v8, vcc_lo, 0, v8, vcc_lo
	s_or_b32 vcc_lo, s2, s1
	v_add_co_ci_u32_e32 v6, vcc_lo, 0, v6, vcc_lo
	v_cmp_gt_i32_e32 vcc_lo, 31, v7
	v_cndmask_b32_e32 v8, 0x7c00, v8, vcc_lo
	v_cmp_gt_i32_e32 vcc_lo, 31, v9
	v_cndmask_b32_e32 v6, 0x7c00, v6, vcc_lo
	v_cmp_eq_u32_e32 vcc_lo, 0x40f, v7
	v_cndmask_b32_e32 v2, v8, v2, vcc_lo
	v_cmp_eq_u32_e32 vcc_lo, 0x40f, v9
	v_and_or_b32 v2, 0x8000, v3, v2
	v_cndmask_b32_e32 v4, v6, v4, vcc_lo
	v_add_co_u32 v0, vcc_lo, v0, s6
	v_add_co_ci_u32_e32 v1, vcc_lo, s7, v1, vcc_lo
	v_and_or_b32 v3, 0x8000, v5, v4
	v_and_b32_e32 v2, 0xffff, v2
	v_lshl_or_b32 v2, v3, 16, v2
	global_store_dword v[0:1], v2, off
	global_load_dword v4, v73, s[16:17]
	ds_read2st64_b32 v[2:3], v53 offset0:104 offset1:140
	s_waitcnt lgkmcnt(0)
	v_lshrrev_b32_e32 v5, 16, v2
	s_waitcnt vmcnt(0)
	v_mul_f16_sdwa v6, v5, v4 dst_sel:DWORD dst_unused:UNUSED_PAD src0_sel:DWORD src1_sel:WORD_1
	v_mul_f16_sdwa v7, v2, v4 dst_sel:DWORD dst_unused:UNUSED_PAD src0_sel:DWORD src1_sel:WORD_1
	v_fmac_f16_e32 v6, v2, v4
	v_fma_f16 v2, v4, v5, -v7
	v_cvt_f32_f16_e32 v4, v6
	v_cvt_f32_f16_e32 v2, v2
	v_cvt_f64_f32_e32 v[4:5], v4
	v_cvt_f64_f32_e32 v[6:7], v2
	v_mul_f64 v[4:5], v[4:5], s[4:5]
	v_mul_f64 v[6:7], v[6:7], s[4:5]
	v_and_or_b32 v2, 0x1ff, v5, v4
	v_and_or_b32 v6, 0x1ff, v7, v6
	v_lshrrev_b32_e32 v4, 8, v5
	v_bfe_u32 v8, v5, 20, 11
	v_lshrrev_b32_e32 v9, 8, v7
	v_cmp_ne_u32_e32 vcc_lo, 0, v2
	v_bfe_u32 v10, v7, 20, 11
	v_lshrrev_b32_e32 v5, 16, v5
	v_sub_nc_u32_e32 v11, 0x3f1, v8
	v_add_nc_u32_e32 v8, 0xfffffc10, v8
	v_cndmask_b32_e64 v2, 0, 1, vcc_lo
	v_cmp_ne_u32_e32 vcc_lo, 0, v6
	v_lshrrev_b32_e32 v7, 16, v7
	v_and_or_b32 v2, 0xffe, v4, v2
	v_cndmask_b32_e64 v6, 0, 1, vcc_lo
	v_sub_nc_u32_e32 v4, 0x3f1, v10
	v_add_nc_u32_e32 v10, 0xfffffc10, v10
	v_and_or_b32 v6, 0xffe, v9, v6
	v_med3_i32 v9, v11, 0, 13
	v_or_b32_e32 v11, 0x1000, v2
	v_med3_i32 v4, v4, 0, 13
	v_or_b32_e32 v12, 0x1000, v6
	v_lshrrev_b32_e32 v13, v9, v11
	v_lshrrev_b32_e32 v14, v4, v12
	v_lshlrev_b32_e32 v9, v9, v13
	v_lshlrev_b32_e32 v4, v4, v14
	v_cmp_ne_u32_e32 vcc_lo, v9, v11
	v_lshl_or_b32 v11, v8, 12, v2
	v_cndmask_b32_e64 v9, 0, 1, vcc_lo
	v_cmp_ne_u32_e32 vcc_lo, v4, v12
	v_lshl_or_b32 v12, v10, 12, v6
	v_or_b32_e32 v9, v13, v9
	v_cndmask_b32_e64 v4, 0, 1, vcc_lo
	v_cmp_gt_i32_e32 vcc_lo, 1, v8
	v_or_b32_e32 v4, v14, v4
	v_cndmask_b32_e32 v9, v11, v9, vcc_lo
	v_cmp_gt_i32_e32 vcc_lo, 1, v10
	v_and_b32_e32 v11, 7, v9
	v_cndmask_b32_e32 v4, v12, v4, vcc_lo
	v_cmp_ne_u32_e32 vcc_lo, 0, v2
	v_lshrrev_b32_e32 v9, 2, v9
	v_cmp_eq_u32_e64 s0, 3, v11
	v_and_b32_e32 v12, 7, v4
	v_cndmask_b32_e64 v2, 0, 1, vcc_lo
	v_cmp_ne_u32_e32 vcc_lo, 0, v6
	v_lshrrev_b32_e32 v4, 2, v4
	v_cmp_lt_i32_e64 s1, 5, v12
	v_cmp_eq_u32_e64 s2, 3, v12
	v_cndmask_b32_e64 v6, 0, 1, vcc_lo
	v_cmp_lt_i32_e32 vcc_lo, 5, v11
	v_lshl_or_b32 v2, v2, 9, 0x7c00
	v_lshl_or_b32 v6, v6, 9, 0x7c00
	s_or_b32 vcc_lo, s0, vcc_lo
	v_add_co_ci_u32_e32 v9, vcc_lo, 0, v9, vcc_lo
	s_or_b32 vcc_lo, s2, s1
	v_add_co_ci_u32_e32 v4, vcc_lo, 0, v4, vcc_lo
	v_cmp_gt_i32_e32 vcc_lo, 31, v8
	v_cndmask_b32_e32 v9, 0x7c00, v9, vcc_lo
	v_cmp_gt_i32_e32 vcc_lo, 31, v10
	v_cndmask_b32_e32 v4, 0x7c00, v4, vcc_lo
	v_cmp_eq_u32_e32 vcc_lo, 0x40f, v8
	v_cndmask_b32_e32 v2, v9, v2, vcc_lo
	v_cmp_eq_u32_e32 vcc_lo, 0x40f, v10
	v_and_or_b32 v2, 0x8000, v5, v2
	v_cndmask_b32_e32 v4, v4, v6, vcc_lo
	v_add_co_u32 v0, vcc_lo, v0, s6
	v_add_co_ci_u32_e32 v1, vcc_lo, s7, v1, vcc_lo
	v_and_or_b32 v4, 0x8000, v7, v4
	v_and_b32_e32 v2, 0xffff, v2
	v_lshl_or_b32 v2, v4, 16, v2
	v_add_co_u32 v4, vcc_lo, 0x8800, v54
	v_add_co_ci_u32_e32 v5, vcc_lo, 0, v55, vcc_lo
	global_store_dword v[0:1], v2, off
	global_load_dword v2, v[4:5], off offset:1024
	v_lshrrev_b32_e32 v4, 16, v3
	s_waitcnt vmcnt(0)
	v_mul_f16_sdwa v5, v4, v2 dst_sel:DWORD dst_unused:UNUSED_PAD src0_sel:DWORD src1_sel:WORD_1
	v_mul_f16_sdwa v6, v3, v2 dst_sel:DWORD dst_unused:UNUSED_PAD src0_sel:DWORD src1_sel:WORD_1
	v_fmac_f16_e32 v5, v3, v2
	v_fma_f16 v2, v2, v4, -v6
	v_cvt_f32_f16_e32 v3, v5
	v_cvt_f32_f16_e32 v4, v2
	v_cvt_f64_f32_e32 v[2:3], v3
	v_cvt_f64_f32_e32 v[4:5], v4
	v_mul_f64 v[2:3], v[2:3], s[4:5]
	v_mul_f64 v[4:5], v[4:5], s[4:5]
	v_and_or_b32 v2, 0x1ff, v3, v2
	v_and_or_b32 v4, 0x1ff, v5, v4
	v_lshrrev_b32_e32 v6, 8, v3
	v_bfe_u32 v7, v3, 20, 11
	v_lshrrev_b32_e32 v8, 8, v5
	v_cmp_ne_u32_e32 vcc_lo, 0, v2
	v_bfe_u32 v9, v5, 20, 11
	v_lshrrev_b32_e32 v3, 16, v3
	v_sub_nc_u32_e32 v10, 0x3f1, v7
	v_add_nc_u32_e32 v7, 0xfffffc10, v7
	v_cndmask_b32_e64 v2, 0, 1, vcc_lo
	v_cmp_ne_u32_e32 vcc_lo, 0, v4
	v_lshrrev_b32_e32 v5, 16, v5
	v_and_or_b32 v2, 0xffe, v6, v2
	v_cndmask_b32_e64 v4, 0, 1, vcc_lo
	v_sub_nc_u32_e32 v6, 0x3f1, v9
	v_add_nc_u32_e32 v9, 0xfffffc10, v9
	v_and_or_b32 v4, 0xffe, v8, v4
	v_med3_i32 v8, v10, 0, 13
	v_or_b32_e32 v10, 0x1000, v2
	v_med3_i32 v6, v6, 0, 13
	v_or_b32_e32 v11, 0x1000, v4
	v_lshrrev_b32_e32 v12, v8, v10
	v_lshrrev_b32_e32 v13, v6, v11
	v_lshlrev_b32_e32 v8, v8, v12
	v_lshlrev_b32_e32 v6, v6, v13
	v_cmp_ne_u32_e32 vcc_lo, v8, v10
	v_lshl_or_b32 v10, v7, 12, v2
	v_cndmask_b32_e64 v8, 0, 1, vcc_lo
	v_cmp_ne_u32_e32 vcc_lo, v6, v11
	v_lshl_or_b32 v11, v9, 12, v4
	v_or_b32_e32 v8, v12, v8
	v_cndmask_b32_e64 v6, 0, 1, vcc_lo
	v_cmp_gt_i32_e32 vcc_lo, 1, v7
	v_or_b32_e32 v6, v13, v6
	v_cndmask_b32_e32 v8, v10, v8, vcc_lo
	v_cmp_gt_i32_e32 vcc_lo, 1, v9
	v_and_b32_e32 v10, 7, v8
	v_cndmask_b32_e32 v6, v11, v6, vcc_lo
	v_cmp_ne_u32_e32 vcc_lo, 0, v2
	v_lshrrev_b32_e32 v8, 2, v8
	v_cmp_eq_u32_e64 s0, 3, v10
	v_and_b32_e32 v11, 7, v6
	v_cndmask_b32_e64 v2, 0, 1, vcc_lo
	v_cmp_ne_u32_e32 vcc_lo, 0, v4
	v_lshrrev_b32_e32 v6, 2, v6
	v_cmp_lt_i32_e64 s1, 5, v11
	v_cmp_eq_u32_e64 s2, 3, v11
	v_cndmask_b32_e64 v4, 0, 1, vcc_lo
	v_cmp_lt_i32_e32 vcc_lo, 5, v10
	v_lshl_or_b32 v2, v2, 9, 0x7c00
	v_lshl_or_b32 v4, v4, 9, 0x7c00
	s_or_b32 vcc_lo, s0, vcc_lo
	v_add_co_ci_u32_e32 v8, vcc_lo, 0, v8, vcc_lo
	s_or_b32 vcc_lo, s2, s1
	v_add_co_ci_u32_e32 v6, vcc_lo, 0, v6, vcc_lo
	v_cmp_gt_i32_e32 vcc_lo, 31, v7
	v_cndmask_b32_e32 v8, 0x7c00, v8, vcc_lo
	v_cmp_gt_i32_e32 vcc_lo, 31, v9
	v_cndmask_b32_e32 v6, 0x7c00, v6, vcc_lo
	v_cmp_eq_u32_e32 vcc_lo, 0x40f, v7
	v_cndmask_b32_e32 v2, v8, v2, vcc_lo
	v_cmp_eq_u32_e32 vcc_lo, 0x40f, v9
	v_and_or_b32 v2, 0x8000, v3, v2
	v_cndmask_b32_e32 v4, v6, v4, vcc_lo
	v_add_co_u32 v0, vcc_lo, v0, s6
	v_add_co_ci_u32_e32 v1, vcc_lo, s7, v1, vcc_lo
	v_and_or_b32 v3, 0x8000, v5, v4
	v_and_b32_e32 v2, 0xffff, v2
	v_lshl_or_b32 v2, v3, 16, v2
	global_store_dword v[0:1], v2, off
.LBB0_39:
	s_endpgm
	.section	.rodata,"a",@progbits
	.p2align	6, 0x0
	.amdhsa_kernel bluestein_single_back_len9216_dim1_half_op_CI_CI
		.amdhsa_group_segment_fixed_size 36864
		.amdhsa_private_segment_fixed_size 0
		.amdhsa_kernarg_size 104
		.amdhsa_user_sgpr_count 6
		.amdhsa_user_sgpr_private_segment_buffer 1
		.amdhsa_user_sgpr_dispatch_ptr 0
		.amdhsa_user_sgpr_queue_ptr 0
		.amdhsa_user_sgpr_kernarg_segment_ptr 1
		.amdhsa_user_sgpr_dispatch_id 0
		.amdhsa_user_sgpr_flat_scratch_init 0
		.amdhsa_user_sgpr_private_segment_size 0
		.amdhsa_wavefront_size32 1
		.amdhsa_uses_dynamic_stack 0
		.amdhsa_system_sgpr_private_segment_wavefront_offset 0
		.amdhsa_system_sgpr_workgroup_id_x 1
		.amdhsa_system_sgpr_workgroup_id_y 0
		.amdhsa_system_sgpr_workgroup_id_z 0
		.amdhsa_system_sgpr_workgroup_info 0
		.amdhsa_system_vgpr_workitem_id 0
		.amdhsa_next_free_vgpr 170
		.amdhsa_next_free_sgpr 20
		.amdhsa_reserve_vcc 1
		.amdhsa_reserve_flat_scratch 0
		.amdhsa_float_round_mode_32 0
		.amdhsa_float_round_mode_16_64 0
		.amdhsa_float_denorm_mode_32 3
		.amdhsa_float_denorm_mode_16_64 3
		.amdhsa_dx10_clamp 1
		.amdhsa_ieee_mode 1
		.amdhsa_fp16_overflow 0
		.amdhsa_workgroup_processor_mode 1
		.amdhsa_memory_ordered 1
		.amdhsa_forward_progress 0
		.amdhsa_shared_vgpr_count 0
		.amdhsa_exception_fp_ieee_invalid_op 0
		.amdhsa_exception_fp_denorm_src 0
		.amdhsa_exception_fp_ieee_div_zero 0
		.amdhsa_exception_fp_ieee_overflow 0
		.amdhsa_exception_fp_ieee_underflow 0
		.amdhsa_exception_fp_ieee_inexact 0
		.amdhsa_exception_int_div_zero 0
	.end_amdhsa_kernel
	.text
.Lfunc_end0:
	.size	bluestein_single_back_len9216_dim1_half_op_CI_CI, .Lfunc_end0-bluestein_single_back_len9216_dim1_half_op_CI_CI
                                        ; -- End function
	.section	.AMDGPU.csdata,"",@progbits
; Kernel info:
; codeLenInByte = 33584
; NumSgprs: 22
; NumVgprs: 170
; ScratchSize: 0
; MemoryBound: 0
; FloatMode: 240
; IeeeMode: 1
; LDSByteSize: 36864 bytes/workgroup (compile time only)
; SGPRBlocks: 2
; VGPRBlocks: 21
; NumSGPRsForWavesPerEU: 22
; NumVGPRsForWavesPerEU: 170
; Occupancy: 5
; WaveLimiterHint : 1
; COMPUTE_PGM_RSRC2:SCRATCH_EN: 0
; COMPUTE_PGM_RSRC2:USER_SGPR: 6
; COMPUTE_PGM_RSRC2:TRAP_HANDLER: 0
; COMPUTE_PGM_RSRC2:TGID_X_EN: 1
; COMPUTE_PGM_RSRC2:TGID_Y_EN: 0
; COMPUTE_PGM_RSRC2:TGID_Z_EN: 0
; COMPUTE_PGM_RSRC2:TIDIG_COMP_CNT: 0
	.text
	.p2alignl 6, 3214868480
	.fill 48, 4, 3214868480
	.type	__hip_cuid_b0065106a5b6aa18,@object ; @__hip_cuid_b0065106a5b6aa18
	.section	.bss,"aw",@nobits
	.globl	__hip_cuid_b0065106a5b6aa18
__hip_cuid_b0065106a5b6aa18:
	.byte	0                               ; 0x0
	.size	__hip_cuid_b0065106a5b6aa18, 1

	.ident	"AMD clang version 19.0.0git (https://github.com/RadeonOpenCompute/llvm-project roc-6.4.0 25133 c7fe45cf4b819c5991fe208aaa96edf142730f1d)"
	.section	".note.GNU-stack","",@progbits
	.addrsig
	.addrsig_sym __hip_cuid_b0065106a5b6aa18
	.amdgpu_metadata
---
amdhsa.kernels:
  - .args:
      - .actual_access:  read_only
        .address_space:  global
        .offset:         0
        .size:           8
        .value_kind:     global_buffer
      - .actual_access:  read_only
        .address_space:  global
        .offset:         8
        .size:           8
        .value_kind:     global_buffer
      - .actual_access:  read_only
        .address_space:  global
        .offset:         16
        .size:           8
        .value_kind:     global_buffer
      - .actual_access:  read_only
        .address_space:  global
        .offset:         24
        .size:           8
        .value_kind:     global_buffer
      - .actual_access:  read_only
        .address_space:  global
        .offset:         32
        .size:           8
        .value_kind:     global_buffer
      - .offset:         40
        .size:           8
        .value_kind:     by_value
      - .address_space:  global
        .offset:         48
        .size:           8
        .value_kind:     global_buffer
      - .address_space:  global
        .offset:         56
        .size:           8
        .value_kind:     global_buffer
      - .address_space:  global
        .offset:         64
        .size:           8
        .value_kind:     global_buffer
      - .address_space:  global
        .offset:         72
        .size:           8
        .value_kind:     global_buffer
      - .offset:         80
        .size:           4
        .value_kind:     by_value
      - .address_space:  global
        .offset:         88
        .size:           8
        .value_kind:     global_buffer
      - .address_space:  global
        .offset:         96
        .size:           8
        .value_kind:     global_buffer
    .group_segment_fixed_size: 36864
    .kernarg_segment_align: 8
    .kernarg_segment_size: 104
    .language:       OpenCL C
    .language_version:
      - 2
      - 0
    .max_flat_workgroup_size: 512
    .name:           bluestein_single_back_len9216_dim1_half_op_CI_CI
    .private_segment_fixed_size: 0
    .sgpr_count:     22
    .sgpr_spill_count: 0
    .symbol:         bluestein_single_back_len9216_dim1_half_op_CI_CI.kd
    .uniform_work_group_size: 1
    .uses_dynamic_stack: false
    .vgpr_count:     170
    .vgpr_spill_count: 0
    .wavefront_size: 32
    .workgroup_processor_mode: 1
amdhsa.target:   amdgcn-amd-amdhsa--gfx1030
amdhsa.version:
  - 1
  - 2
...

	.end_amdgpu_metadata
